;; amdgpu-corpus repo=zjin-lcf/HeCBench kind=compiled arch=gfx1030 opt=O3
	.amdgcn_target "amdgcn-amd-amdhsa--gfx1030"
	.amdhsa_code_object_version 6
	.text
	.protected	_Z21gpu_apply_hamiltonianidPKiS0_PKdS2_S2_S2_S2_PdS3_ ; -- Begin function _Z21gpu_apply_hamiltonianidPKiS0_PKdS2_S2_S2_S2_PdS3_
	.globl	_Z21gpu_apply_hamiltonianidPKiS0_PKdS2_S2_S2_S2_PdS3_
	.p2align	8
	.type	_Z21gpu_apply_hamiltonianidPKiS0_PKdS2_S2_S2_S2_PdS3_,@function
_Z21gpu_apply_hamiltonianidPKiS0_PKdS2_S2_S2_S2_PdS3_: ; @_Z21gpu_apply_hamiltonianidPKiS0_PKdS2_S2_S2_S2_PdS3_
; %bb.0:
	s_clause 0x1
	s_load_dword s0, s[4:5], 0x64
	s_load_dword s16, s[4:5], 0x0
	s_waitcnt lgkmcnt(0)
	s_and_b32 s0, s0, 0xffff
	v_mad_u64_u32 v[2:3], null, s6, s0, v[0:1]
	s_mov_b32 s0, exec_lo
	v_cmpx_gt_i32_e64 s16, v2
	s_cbranch_execz .LBB0_6
; %bb.1:
	s_clause 0x1
	s_load_dwordx2 s[0:1], s[4:5], 0x20
	s_load_dwordx8 s[8:15], s[4:5], 0x38
	v_ashrrev_i32_e32 v3, 31, v2
	s_load_dwordx2 s[2:3], s[4:5], 0x10
	s_mov_b32 s18, 0
	s_mov_b32 s17, exec_lo
	v_lshlrev_b64 v[0:1], 3, v[2:3]
	s_waitcnt lgkmcnt(0)
	v_add_co_u32 v4, vcc_lo, s0, v0
	v_add_co_ci_u32_e64 v5, null, s1, v1, vcc_lo
	v_add_co_u32 v6, vcc_lo, s8, v0
	v_add_co_ci_u32_e64 v7, null, s9, v1, vcc_lo
	;; [unrolled: 2-line block ×3, first 2 shown]
	global_load_dwordx2 v[10:11], v[4:5], off
	global_load_dwordx2 v[4:5], v[6:7], off
	;; [unrolled: 1-line block ×3, first 2 shown]
	v_lshlrev_b64 v[8:9], 2, v[2:3]
	v_add_co_u32 v8, vcc_lo, s2, v8
	v_add_co_ci_u32_e64 v9, null, s3, v9, vcc_lo
	global_load_dword v8, v[8:9], off
	s_waitcnt vmcnt(2)
	v_mul_f64 v[4:5], v[10:11], v[4:5]
	s_waitcnt vmcnt(1)
	v_mul_f64 v[6:7], v[10:11], v[6:7]
	s_waitcnt vmcnt(0)
	v_cmpx_lt_i32_e32 0, v8
	s_cbranch_execz .LBB0_5
; %bb.2:
	s_clause 0x1
	s_load_dwordx2 s[6:7], s[4:5], 0x18
	s_load_dwordx4 s[0:3], s[4:5], 0x28
.LBB0_3:                                ; =>This Inner Loop Header: Depth=1
	v_ashrrev_i32_e32 v3, 31, v2
	v_add_nc_u32_e32 v8, -1, v8
	v_lshlrev_b64 v[9:10], 2, v[2:3]
	v_lshlrev_b64 v[11:12], 3, v[2:3]
	v_add_nc_u32_e32 v2, s16, v2
	s_waitcnt lgkmcnt(0)
	v_add_co_u32 v9, vcc_lo, s6, v9
	v_add_co_ci_u32_e64 v10, null, s7, v10, vcc_lo
	v_add_co_u32 v13, vcc_lo, s2, v11
	v_add_co_ci_u32_e64 v14, null, s3, v12, vcc_lo
	global_load_dword v9, v[9:10], off
	s_waitcnt vmcnt(0)
	v_ashrrev_i32_e32 v10, 31, v9
	v_lshlrev_b64 v[9:10], 3, v[9:10]
	v_add_co_u32 v15, vcc_lo, s10, v9
	v_add_co_ci_u32_e64 v16, null, s11, v10, vcc_lo
	v_add_co_u32 v11, vcc_lo, s0, v11
	v_add_co_ci_u32_e64 v12, null, s1, v12, vcc_lo
	global_load_dwordx2 v[13:14], v[13:14], off
	global_load_dwordx2 v[15:16], v[15:16], off
	global_load_dwordx2 v[11:12], v[11:12], off
	v_add_co_u32 v9, vcc_lo, s8, v9
	v_add_co_ci_u32_e64 v10, null, s9, v10, vcc_lo
	v_cmp_eq_u32_e32 vcc_lo, 0, v8
	global_load_dwordx2 v[9:10], v[9:10], off
	s_or_b32 s18, vcc_lo, s18
	s_waitcnt vmcnt(2)
	v_mul_f64 v[17:18], v[13:14], v[15:16]
	s_waitcnt vmcnt(1)
	v_mul_f64 v[15:16], v[11:12], v[15:16]
	s_waitcnt vmcnt(0)
	v_fma_f64 v[11:12], v[11:12], v[9:10], -v[17:18]
	v_fma_f64 v[9:10], v[13:14], v[9:10], v[15:16]
	v_add_f64 v[4:5], v[4:5], v[11:12]
	v_add_f64 v[6:7], v[6:7], v[9:10]
	s_andn2_b32 exec_lo, exec_lo, s18
	s_cbranch_execnz .LBB0_3
; %bb.4:
	s_or_b32 exec_lo, exec_lo, s18
.LBB0_5:
	s_or_b32 exec_lo, exec_lo, s17
	s_load_dwordx2 s[2:3], s[4:5], 0x8
	s_waitcnt lgkmcnt(0)
	v_div_scale_f64 v[2:3], null, s[2:3], s[2:3], v[4:5]
	v_div_scale_f64 v[8:9], null, s[2:3], s[2:3], v[6:7]
	v_div_scale_f64 v[18:19], vcc_lo, v[4:5], s[2:3], v[4:5]
	v_rcp_f64_e32 v[10:11], v[2:3]
	v_rcp_f64_e32 v[12:13], v[8:9]
	v_fma_f64 v[14:15], -v[2:3], v[10:11], 1.0
	v_fma_f64 v[16:17], -v[8:9], v[12:13], 1.0
	v_fma_f64 v[10:11], v[10:11], v[14:15], v[10:11]
	v_fma_f64 v[12:13], v[12:13], v[16:17], v[12:13]
	v_fma_f64 v[14:15], -v[2:3], v[10:11], 1.0
	v_fma_f64 v[16:17], -v[8:9], v[12:13], 1.0
	v_fma_f64 v[10:11], v[10:11], v[14:15], v[10:11]
	v_div_scale_f64 v[14:15], s0, v[6:7], s[2:3], v[6:7]
	v_fma_f64 v[12:13], v[12:13], v[16:17], v[12:13]
	v_mul_f64 v[16:17], v[18:19], v[10:11]
	v_mul_f64 v[20:21], v[14:15], v[12:13]
	v_fma_f64 v[2:3], -v[2:3], v[16:17], v[18:19]
	v_fma_f64 v[8:9], -v[8:9], v[20:21], v[14:15]
	v_div_fmas_f64 v[2:3], v[2:3], v[10:11], v[16:17]
	s_mov_b32 vcc_lo, s0
	v_div_fmas_f64 v[8:9], v[8:9], v[12:13], v[20:21]
	v_div_fixup_f64 v[2:3], v[2:3], s[2:3], v[4:5]
	v_div_fixup_f64 v[4:5], v[8:9], s[2:3], v[6:7]
	v_add_co_u32 v6, vcc_lo, s12, v0
	v_add_co_ci_u32_e64 v7, null, s13, v1, vcc_lo
	v_add_co_u32 v0, vcc_lo, s14, v0
	v_add_co_ci_u32_e64 v1, null, s15, v1, vcc_lo
	global_store_dwordx2 v[6:7], v[2:3], off
	global_store_dwordx2 v[0:1], v[4:5], off
.LBB0_6:
	s_endpgm
	.section	.rodata,"a",@progbits
	.p2align	6, 0x0
	.amdhsa_kernel _Z21gpu_apply_hamiltonianidPKiS0_PKdS2_S2_S2_S2_PdS3_
		.amdhsa_group_segment_fixed_size 0
		.amdhsa_private_segment_fixed_size 0
		.amdhsa_kernarg_size 344
		.amdhsa_user_sgpr_count 6
		.amdhsa_user_sgpr_private_segment_buffer 1
		.amdhsa_user_sgpr_dispatch_ptr 0
		.amdhsa_user_sgpr_queue_ptr 0
		.amdhsa_user_sgpr_kernarg_segment_ptr 1
		.amdhsa_user_sgpr_dispatch_id 0
		.amdhsa_user_sgpr_flat_scratch_init 0
		.amdhsa_user_sgpr_private_segment_size 0
		.amdhsa_wavefront_size32 1
		.amdhsa_uses_dynamic_stack 0
		.amdhsa_system_sgpr_private_segment_wavefront_offset 0
		.amdhsa_system_sgpr_workgroup_id_x 1
		.amdhsa_system_sgpr_workgroup_id_y 0
		.amdhsa_system_sgpr_workgroup_id_z 0
		.amdhsa_system_sgpr_workgroup_info 0
		.amdhsa_system_vgpr_workitem_id 0
		.amdhsa_next_free_vgpr 22
		.amdhsa_next_free_sgpr 19
		.amdhsa_reserve_vcc 1
		.amdhsa_reserve_flat_scratch 0
		.amdhsa_float_round_mode_32 0
		.amdhsa_float_round_mode_16_64 0
		.amdhsa_float_denorm_mode_32 3
		.amdhsa_float_denorm_mode_16_64 3
		.amdhsa_dx10_clamp 1
		.amdhsa_ieee_mode 1
		.amdhsa_fp16_overflow 0
		.amdhsa_workgroup_processor_mode 1
		.amdhsa_memory_ordered 1
		.amdhsa_forward_progress 1
		.amdhsa_shared_vgpr_count 0
		.amdhsa_exception_fp_ieee_invalid_op 0
		.amdhsa_exception_fp_denorm_src 0
		.amdhsa_exception_fp_ieee_div_zero 0
		.amdhsa_exception_fp_ieee_overflow 0
		.amdhsa_exception_fp_ieee_underflow 0
		.amdhsa_exception_fp_ieee_inexact 0
		.amdhsa_exception_int_div_zero 0
	.end_amdhsa_kernel
	.text
.Lfunc_end0:
	.size	_Z21gpu_apply_hamiltonianidPKiS0_PKdS2_S2_S2_S2_PdS3_, .Lfunc_end0-_Z21gpu_apply_hamiltonianidPKiS0_PKdS2_S2_S2_S2_PdS3_
                                        ; -- End function
	.set _Z21gpu_apply_hamiltonianidPKiS0_PKdS2_S2_S2_S2_PdS3_.num_vgpr, 22
	.set _Z21gpu_apply_hamiltonianidPKiS0_PKdS2_S2_S2_S2_PdS3_.num_agpr, 0
	.set _Z21gpu_apply_hamiltonianidPKiS0_PKdS2_S2_S2_S2_PdS3_.numbered_sgpr, 19
	.set _Z21gpu_apply_hamiltonianidPKiS0_PKdS2_S2_S2_S2_PdS3_.num_named_barrier, 0
	.set _Z21gpu_apply_hamiltonianidPKiS0_PKdS2_S2_S2_S2_PdS3_.private_seg_size, 0
	.set _Z21gpu_apply_hamiltonianidPKiS0_PKdS2_S2_S2_S2_PdS3_.uses_vcc, 1
	.set _Z21gpu_apply_hamiltonianidPKiS0_PKdS2_S2_S2_S2_PdS3_.uses_flat_scratch, 0
	.set _Z21gpu_apply_hamiltonianidPKiS0_PKdS2_S2_S2_S2_PdS3_.has_dyn_sized_stack, 0
	.set _Z21gpu_apply_hamiltonianidPKiS0_PKdS2_S2_S2_S2_PdS3_.has_recursion, 0
	.set _Z21gpu_apply_hamiltonianidPKiS0_PKdS2_S2_S2_S2_PdS3_.has_indirect_call, 0
	.section	.AMDGPU.csdata,"",@progbits
; Kernel info:
; codeLenInByte = 756
; TotalNumSgprs: 21
; NumVgprs: 22
; ScratchSize: 0
; MemoryBound: 0
; FloatMode: 240
; IeeeMode: 1
; LDSByteSize: 0 bytes/workgroup (compile time only)
; SGPRBlocks: 0
; VGPRBlocks: 2
; NumSGPRsForWavesPerEU: 21
; NumVGPRsForWavesPerEU: 22
; Occupancy: 16
; WaveLimiterHint : 1
; COMPUTE_PGM_RSRC2:SCRATCH_EN: 0
; COMPUTE_PGM_RSRC2:USER_SGPR: 6
; COMPUTE_PGM_RSRC2:TRAP_HANDLER: 0
; COMPUTE_PGM_RSRC2:TGID_X_EN: 1
; COMPUTE_PGM_RSRC2:TGID_Y_EN: 0
; COMPUTE_PGM_RSRC2:TGID_Z_EN: 0
; COMPUTE_PGM_RSRC2:TIDIG_COMP_CNT: 0
	.text
	.protected	_Z20gpu_apply_commutatoridPiS_PdS0_S0_S0_S0_S0_S0_ ; -- Begin function _Z20gpu_apply_commutatoridPiS_PdS0_S0_S0_S0_S0_S0_
	.globl	_Z20gpu_apply_commutatoridPiS_PdS0_S0_S0_S0_S0_S0_
	.p2align	8
	.type	_Z20gpu_apply_commutatoridPiS_PdS0_S0_S0_S0_S0_S0_,@function
_Z20gpu_apply_commutatoridPiS_PdS0_S0_S0_S0_S0_S0_: ; @_Z20gpu_apply_commutatoridPiS_PdS0_S0_S0_S0_S0_S0_
; %bb.0:
	s_clause 0x1
	s_load_dword s1, s[4:5], 0x64
	s_load_dword s0, s[4:5], 0x0
	s_waitcnt lgkmcnt(0)
	s_and_b32 s1, s1, 0xffff
	v_mad_u64_u32 v[0:1], null, s6, s1, v[0:1]
	s_mov_b32 s1, exec_lo
	v_cmpx_gt_i32_e64 s0, v0
	s_cbranch_execz .LBB1_6
; %bb.1:
	s_load_dwordx16 s[8:23], s[4:5], 0x8
	v_ashrrev_i32_e32 v1, 31, v0
	v_mov_b32_e32 v4, 0
	v_mov_b32_e32 v5, 0
	s_mov_b32 s2, 0
	s_mov_b32 s1, exec_lo
	v_lshlrev_b64 v[2:3], 2, v[0:1]
	s_waitcnt lgkmcnt(0)
	v_add_co_u32 v2, vcc_lo, s10, v2
	v_add_co_ci_u32_e64 v3, null, s11, v3, vcc_lo
	global_load_dword v8, v[2:3], off
	v_mov_b32_e32 v2, 0
	v_mov_b32_e32 v3, 0
	s_waitcnt vmcnt(0)
	v_cmpx_lt_i32_e32 0, v8
	s_cbranch_execz .LBB1_5
; %bb.2:
	v_mov_b32_e32 v2, 0
	v_mov_b32_e32 v4, 0
	v_mov_b32_e32 v3, 0
	v_mov_b32_e32 v5, 0
	v_mov_b32_e32 v6, v0
.LBB1_3:                                ; =>This Inner Loop Header: Depth=1
	v_ashrrev_i32_e32 v7, 31, v6
	v_add_nc_u32_e32 v8, -1, v8
	v_lshlrev_b64 v[9:10], 2, v[6:7]
	v_lshlrev_b64 v[11:12], 3, v[6:7]
	v_add_nc_u32_e32 v6, s0, v6
	v_add_co_u32 v9, vcc_lo, s12, v9
	v_add_co_ci_u32_e64 v10, null, s13, v10, vcc_lo
	v_add_co_u32 v13, vcc_lo, s16, v11
	v_add_co_ci_u32_e64 v14, null, s17, v12, vcc_lo
	global_load_dword v9, v[9:10], off
	s_waitcnt vmcnt(0)
	v_ashrrev_i32_e32 v10, 31, v9
	v_lshlrev_b64 v[9:10], 3, v[9:10]
	v_add_co_u32 v15, vcc_lo, s22, v9
	v_add_co_ci_u32_e64 v16, null, s23, v10, vcc_lo
	v_add_co_u32 v17, vcc_lo, s14, v11
	v_add_co_ci_u32_e64 v18, null, s15, v12, vcc_lo
	global_load_dwordx2 v[13:14], v[13:14], off
	global_load_dwordx2 v[15:16], v[15:16], off
	;; [unrolled: 1-line block ×3, first 2 shown]
	v_add_co_u32 v9, vcc_lo, s20, v9
	v_add_co_ci_u32_e64 v10, null, s21, v10, vcc_lo
	v_add_co_u32 v11, vcc_lo, s18, v11
	v_add_co_ci_u32_e64 v12, null, s19, v12, vcc_lo
	global_load_dwordx2 v[9:10], v[9:10], off
	v_cmp_eq_u32_e32 vcc_lo, 0, v8
	global_load_dwordx2 v[11:12], v[11:12], off
	s_or_b32 s2, vcc_lo, s2
	s_waitcnt vmcnt(3)
	v_mul_f64 v[19:20], v[13:14], v[15:16]
	s_waitcnt vmcnt(2)
	v_mul_f64 v[15:16], v[17:18], v[15:16]
	s_waitcnt vmcnt(1)
	v_fma_f64 v[17:18], v[17:18], v[9:10], -v[19:20]
	v_fma_f64 v[9:10], v[13:14], v[9:10], v[15:16]
	s_waitcnt vmcnt(0)
	v_fma_f64 v[2:3], -v[11:12], v[17:18], v[2:3]
	v_fma_f64 v[4:5], -v[11:12], v[9:10], v[4:5]
	s_andn2_b32 exec_lo, exec_lo, s2
	s_cbranch_execnz .LBB1_3
; %bb.4:
	s_or_b32 exec_lo, exec_lo, s2
.LBB1_5:
	s_or_b32 exec_lo, exec_lo, s1
	v_div_scale_f64 v[6:7], null, s[8:9], s[8:9], v[2:3]
	v_div_scale_f64 v[8:9], null, s[8:9], s[8:9], v[4:5]
	v_div_scale_f64 v[18:19], vcc_lo, v[2:3], s[8:9], v[2:3]
	v_lshlrev_b64 v[0:1], 3, v[0:1]
	v_rcp_f64_e32 v[10:11], v[6:7]
	v_rcp_f64_e32 v[12:13], v[8:9]
	v_fma_f64 v[14:15], -v[6:7], v[10:11], 1.0
	v_fma_f64 v[16:17], -v[8:9], v[12:13], 1.0
	v_fma_f64 v[10:11], v[10:11], v[14:15], v[10:11]
	v_fma_f64 v[12:13], v[12:13], v[16:17], v[12:13]
	v_fma_f64 v[14:15], -v[6:7], v[10:11], 1.0
	v_fma_f64 v[16:17], -v[8:9], v[12:13], 1.0
	v_fma_f64 v[10:11], v[10:11], v[14:15], v[10:11]
	v_div_scale_f64 v[14:15], s0, v[4:5], s[8:9], v[4:5]
	v_fma_f64 v[12:13], v[12:13], v[16:17], v[12:13]
	v_mul_f64 v[16:17], v[18:19], v[10:11]
	v_mul_f64 v[20:21], v[14:15], v[12:13]
	v_fma_f64 v[6:7], -v[6:7], v[16:17], v[18:19]
	v_fma_f64 v[8:9], -v[8:9], v[20:21], v[14:15]
	v_div_fmas_f64 v[6:7], v[6:7], v[10:11], v[16:17]
	s_mov_b32 vcc_lo, s0
	s_load_dwordx4 s[0:3], s[4:5], 0x48
	v_div_fmas_f64 v[8:9], v[8:9], v[12:13], v[20:21]
	v_div_fixup_f64 v[2:3], v[6:7], s[8:9], v[2:3]
	s_waitcnt lgkmcnt(0)
	v_add_co_u32 v6, vcc_lo, s0, v0
	v_div_fixup_f64 v[4:5], v[8:9], s[8:9], v[4:5]
	v_add_co_ci_u32_e64 v7, null, s1, v1, vcc_lo
	v_add_co_u32 v0, vcc_lo, s2, v0
	v_add_co_ci_u32_e64 v1, null, s3, v1, vcc_lo
	global_store_dwordx2 v[6:7], v[2:3], off
	global_store_dwordx2 v[0:1], v[4:5], off
.LBB1_6:
	s_endpgm
	.section	.rodata,"a",@progbits
	.p2align	6, 0x0
	.amdhsa_kernel _Z20gpu_apply_commutatoridPiS_PdS0_S0_S0_S0_S0_S0_
		.amdhsa_group_segment_fixed_size 0
		.amdhsa_private_segment_fixed_size 0
		.amdhsa_kernarg_size 344
		.amdhsa_user_sgpr_count 6
		.amdhsa_user_sgpr_private_segment_buffer 1
		.amdhsa_user_sgpr_dispatch_ptr 0
		.amdhsa_user_sgpr_queue_ptr 0
		.amdhsa_user_sgpr_kernarg_segment_ptr 1
		.amdhsa_user_sgpr_dispatch_id 0
		.amdhsa_user_sgpr_flat_scratch_init 0
		.amdhsa_user_sgpr_private_segment_size 0
		.amdhsa_wavefront_size32 1
		.amdhsa_uses_dynamic_stack 0
		.amdhsa_system_sgpr_private_segment_wavefront_offset 0
		.amdhsa_system_sgpr_workgroup_id_x 1
		.amdhsa_system_sgpr_workgroup_id_y 0
		.amdhsa_system_sgpr_workgroup_id_z 0
		.amdhsa_system_sgpr_workgroup_info 0
		.amdhsa_system_vgpr_workitem_id 0
		.amdhsa_next_free_vgpr 22
		.amdhsa_next_free_sgpr 24
		.amdhsa_reserve_vcc 1
		.amdhsa_reserve_flat_scratch 0
		.amdhsa_float_round_mode_32 0
		.amdhsa_float_round_mode_16_64 0
		.amdhsa_float_denorm_mode_32 3
		.amdhsa_float_denorm_mode_16_64 3
		.amdhsa_dx10_clamp 1
		.amdhsa_ieee_mode 1
		.amdhsa_fp16_overflow 0
		.amdhsa_workgroup_processor_mode 1
		.amdhsa_memory_ordered 1
		.amdhsa_forward_progress 1
		.amdhsa_shared_vgpr_count 0
		.amdhsa_exception_fp_ieee_invalid_op 0
		.amdhsa_exception_fp_denorm_src 0
		.amdhsa_exception_fp_ieee_div_zero 0
		.amdhsa_exception_fp_ieee_overflow 0
		.amdhsa_exception_fp_ieee_underflow 0
		.amdhsa_exception_fp_ieee_inexact 0
		.amdhsa_exception_int_div_zero 0
	.end_amdhsa_kernel
	.text
.Lfunc_end1:
	.size	_Z20gpu_apply_commutatoridPiS_PdS0_S0_S0_S0_S0_S0_, .Lfunc_end1-_Z20gpu_apply_commutatoridPiS_PdS0_S0_S0_S0_S0_S0_
                                        ; -- End function
	.set _Z20gpu_apply_commutatoridPiS_PdS0_S0_S0_S0_S0_S0_.num_vgpr, 22
	.set _Z20gpu_apply_commutatoridPiS_PdS0_S0_S0_S0_S0_S0_.num_agpr, 0
	.set _Z20gpu_apply_commutatoridPiS_PdS0_S0_S0_S0_S0_S0_.numbered_sgpr, 24
	.set _Z20gpu_apply_commutatoridPiS_PdS0_S0_S0_S0_S0_S0_.num_named_barrier, 0
	.set _Z20gpu_apply_commutatoridPiS_PdS0_S0_S0_S0_S0_S0_.private_seg_size, 0
	.set _Z20gpu_apply_commutatoridPiS_PdS0_S0_S0_S0_S0_S0_.uses_vcc, 1
	.set _Z20gpu_apply_commutatoridPiS_PdS0_S0_S0_S0_S0_S0_.uses_flat_scratch, 0
	.set _Z20gpu_apply_commutatoridPiS_PdS0_S0_S0_S0_S0_S0_.has_dyn_sized_stack, 0
	.set _Z20gpu_apply_commutatoridPiS_PdS0_S0_S0_S0_S0_S0_.has_recursion, 0
	.set _Z20gpu_apply_commutatoridPiS_PdS0_S0_S0_S0_S0_S0_.has_indirect_call, 0
	.section	.AMDGPU.csdata,"",@progbits
; Kernel info:
; codeLenInByte = 680
; TotalNumSgprs: 26
; NumVgprs: 22
; ScratchSize: 0
; MemoryBound: 0
; FloatMode: 240
; IeeeMode: 1
; LDSByteSize: 0 bytes/workgroup (compile time only)
; SGPRBlocks: 0
; VGPRBlocks: 2
; NumSGPRsForWavesPerEU: 26
; NumVGPRsForWavesPerEU: 22
; Occupancy: 16
; WaveLimiterHint : 1
; COMPUTE_PGM_RSRC2:SCRATCH_EN: 0
; COMPUTE_PGM_RSRC2:USER_SGPR: 6
; COMPUTE_PGM_RSRC2:TRAP_HANDLER: 0
; COMPUTE_PGM_RSRC2:TGID_X_EN: 1
; COMPUTE_PGM_RSRC2:TGID_Y_EN: 0
; COMPUTE_PGM_RSRC2:TGID_Z_EN: 0
; COMPUTE_PGM_RSRC2:TIDIG_COMP_CNT: 0
	.text
	.protected	_Z17gpu_apply_currentiPKiS0_PKdS2_S2_S2_S2_PdS3_ ; -- Begin function _Z17gpu_apply_currentiPKiS0_PKdS2_S2_S2_S2_PdS3_
	.globl	_Z17gpu_apply_currentiPKiS0_PKdS2_S2_S2_S2_PdS3_
	.p2align	8
	.type	_Z17gpu_apply_currentiPKiS0_PKdS2_S2_S2_S2_PdS3_,@function
_Z17gpu_apply_currentiPKiS0_PKdS2_S2_S2_S2_PdS3_: ; @_Z17gpu_apply_currentiPKiS0_PKdS2_S2_S2_S2_PdS3_
; %bb.0:
	s_clause 0x1
	s_load_dword s0, s[4:5], 0x5c
	s_load_dword s16, s[4:5], 0x0
	s_waitcnt lgkmcnt(0)
	s_and_b32 s0, s0, 0xffff
	v_mad_u64_u32 v[0:1], null, s6, s0, v[0:1]
	s_mov_b32 s0, exec_lo
	v_cmpx_gt_i32_e64 s16, v0
	s_cbranch_execz .LBB2_6
; %bb.1:
	s_load_dwordx2 s[0:1], s[4:5], 0x8
	v_ashrrev_i32_e32 v1, 31, v0
	v_mov_b32_e32 v4, 0
	v_mov_b32_e32 v5, 0
	s_mov_b32 s18, 0
	s_mov_b32 s17, exec_lo
	v_lshlrev_b64 v[2:3], 2, v[0:1]
	s_waitcnt lgkmcnt(0)
	v_add_co_u32 v2, vcc_lo, s0, v2
	v_add_co_ci_u32_e64 v3, null, s1, v3, vcc_lo
	s_load_dwordx4 s[0:3], s[4:5], 0x40
	global_load_dword v8, v[2:3], off
	v_mov_b32_e32 v2, 0
	v_mov_b32_e32 v3, 0
	s_waitcnt vmcnt(0)
	v_cmpx_lt_i32_e32 0, v8
	s_cbranch_execz .LBB2_5
; %bb.2:
	s_clause 0x1
	s_load_dwordx8 s[8:15], s[4:5], 0x10
	s_load_dwordx4 s[4:7], s[4:5], 0x30
	v_mov_b32_e32 v2, 0
	v_mov_b32_e32 v4, 0
	;; [unrolled: 1-line block ×5, first 2 shown]
.LBB2_3:                                ; =>This Inner Loop Header: Depth=1
	v_ashrrev_i32_e32 v7, 31, v6
	v_add_nc_u32_e32 v8, -1, v8
	v_lshlrev_b64 v[9:10], 2, v[6:7]
	v_lshlrev_b64 v[11:12], 3, v[6:7]
	v_add_nc_u32_e32 v6, s16, v6
	s_waitcnt lgkmcnt(0)
	v_add_co_u32 v9, vcc_lo, s8, v9
	v_add_co_ci_u32_e64 v10, null, s9, v10, vcc_lo
	v_add_co_u32 v13, vcc_lo, s12, v11
	v_add_co_ci_u32_e64 v14, null, s13, v12, vcc_lo
	global_load_dword v9, v[9:10], off
	s_waitcnt vmcnt(0)
	v_ashrrev_i32_e32 v10, 31, v9
	v_lshlrev_b64 v[9:10], 3, v[9:10]
	v_add_co_u32 v15, vcc_lo, s6, v9
	v_add_co_ci_u32_e64 v16, null, s7, v10, vcc_lo
	v_add_co_u32 v17, vcc_lo, s10, v11
	v_add_co_ci_u32_e64 v18, null, s11, v12, vcc_lo
	global_load_dwordx2 v[13:14], v[13:14], off
	global_load_dwordx2 v[15:16], v[15:16], off
	global_load_dwordx2 v[17:18], v[17:18], off
	v_add_co_u32 v9, vcc_lo, s4, v9
	v_add_co_ci_u32_e64 v10, null, s5, v10, vcc_lo
	v_add_co_u32 v11, vcc_lo, s14, v11
	v_add_co_ci_u32_e64 v12, null, s15, v12, vcc_lo
	global_load_dwordx2 v[9:10], v[9:10], off
	v_cmp_eq_u32_e32 vcc_lo, 0, v8
	global_load_dwordx2 v[11:12], v[11:12], off
	s_or_b32 s18, vcc_lo, s18
	s_waitcnt vmcnt(3)
	v_mul_f64 v[19:20], v[13:14], v[15:16]
	s_waitcnt vmcnt(2)
	v_mul_f64 v[15:16], v[17:18], v[15:16]
	s_waitcnt vmcnt(1)
	v_fma_f64 v[17:18], v[17:18], v[9:10], -v[19:20]
	v_fma_f64 v[9:10], v[13:14], v[9:10], v[15:16]
	s_waitcnt vmcnt(0)
	v_fma_f64 v[2:3], v[11:12], v[17:18], v[2:3]
	v_fma_f64 v[4:5], v[11:12], v[9:10], v[4:5]
	s_andn2_b32 exec_lo, exec_lo, s18
	s_cbranch_execnz .LBB2_3
; %bb.4:
	s_or_b32 exec_lo, exec_lo, s18
.LBB2_5:
	s_or_b32 exec_lo, exec_lo, s17
	v_lshlrev_b64 v[0:1], 3, v[0:1]
	v_xor_b32_e32 v3, 0x80000000, v3
	s_waitcnt lgkmcnt(0)
	v_add_co_u32 v6, vcc_lo, s0, v0
	v_add_co_ci_u32_e64 v7, null, s1, v1, vcc_lo
	v_add_co_u32 v0, vcc_lo, s2, v0
	v_add_co_ci_u32_e64 v1, null, s3, v1, vcc_lo
	global_store_dwordx2 v[6:7], v[4:5], off
	global_store_dwordx2 v[0:1], v[2:3], off
.LBB2_6:
	s_endpgm
	.section	.rodata,"a",@progbits
	.p2align	6, 0x0
	.amdhsa_kernel _Z17gpu_apply_currentiPKiS0_PKdS2_S2_S2_S2_PdS3_
		.amdhsa_group_segment_fixed_size 0
		.amdhsa_private_segment_fixed_size 0
		.amdhsa_kernarg_size 336
		.amdhsa_user_sgpr_count 6
		.amdhsa_user_sgpr_private_segment_buffer 1
		.amdhsa_user_sgpr_dispatch_ptr 0
		.amdhsa_user_sgpr_queue_ptr 0
		.amdhsa_user_sgpr_kernarg_segment_ptr 1
		.amdhsa_user_sgpr_dispatch_id 0
		.amdhsa_user_sgpr_flat_scratch_init 0
		.amdhsa_user_sgpr_private_segment_size 0
		.amdhsa_wavefront_size32 1
		.amdhsa_uses_dynamic_stack 0
		.amdhsa_system_sgpr_private_segment_wavefront_offset 0
		.amdhsa_system_sgpr_workgroup_id_x 1
		.amdhsa_system_sgpr_workgroup_id_y 0
		.amdhsa_system_sgpr_workgroup_id_z 0
		.amdhsa_system_sgpr_workgroup_info 0
		.amdhsa_system_vgpr_workitem_id 0
		.amdhsa_next_free_vgpr 21
		.amdhsa_next_free_sgpr 19
		.amdhsa_reserve_vcc 1
		.amdhsa_reserve_flat_scratch 0
		.amdhsa_float_round_mode_32 0
		.amdhsa_float_round_mode_16_64 0
		.amdhsa_float_denorm_mode_32 3
		.amdhsa_float_denorm_mode_16_64 3
		.amdhsa_dx10_clamp 1
		.amdhsa_ieee_mode 1
		.amdhsa_fp16_overflow 0
		.amdhsa_workgroup_processor_mode 1
		.amdhsa_memory_ordered 1
		.amdhsa_forward_progress 1
		.amdhsa_shared_vgpr_count 0
		.amdhsa_exception_fp_ieee_invalid_op 0
		.amdhsa_exception_fp_denorm_src 0
		.amdhsa_exception_fp_ieee_div_zero 0
		.amdhsa_exception_fp_ieee_overflow 0
		.amdhsa_exception_fp_ieee_underflow 0
		.amdhsa_exception_fp_ieee_inexact 0
		.amdhsa_exception_int_div_zero 0
	.end_amdhsa_kernel
	.text
.Lfunc_end2:
	.size	_Z17gpu_apply_currentiPKiS0_PKdS2_S2_S2_S2_PdS3_, .Lfunc_end2-_Z17gpu_apply_currentiPKiS0_PKdS2_S2_S2_S2_PdS3_
                                        ; -- End function
	.set _Z17gpu_apply_currentiPKiS0_PKdS2_S2_S2_S2_PdS3_.num_vgpr, 21
	.set _Z17gpu_apply_currentiPKiS0_PKdS2_S2_S2_S2_PdS3_.num_agpr, 0
	.set _Z17gpu_apply_currentiPKiS0_PKdS2_S2_S2_S2_PdS3_.numbered_sgpr, 19
	.set _Z17gpu_apply_currentiPKiS0_PKdS2_S2_S2_S2_PdS3_.num_named_barrier, 0
	.set _Z17gpu_apply_currentiPKiS0_PKdS2_S2_S2_S2_PdS3_.private_seg_size, 0
	.set _Z17gpu_apply_currentiPKiS0_PKdS2_S2_S2_S2_PdS3_.uses_vcc, 1
	.set _Z17gpu_apply_currentiPKiS0_PKdS2_S2_S2_S2_PdS3_.uses_flat_scratch, 0
	.set _Z17gpu_apply_currentiPKiS0_PKdS2_S2_S2_S2_PdS3_.has_dyn_sized_stack, 0
	.set _Z17gpu_apply_currentiPKiS0_PKdS2_S2_S2_S2_PdS3_.has_recursion, 0
	.set _Z17gpu_apply_currentiPKiS0_PKdS2_S2_S2_S2_PdS3_.has_indirect_call, 0
	.section	.AMDGPU.csdata,"",@progbits
; Kernel info:
; codeLenInByte = 540
; TotalNumSgprs: 21
; NumVgprs: 21
; ScratchSize: 0
; MemoryBound: 0
; FloatMode: 240
; IeeeMode: 1
; LDSByteSize: 0 bytes/workgroup (compile time only)
; SGPRBlocks: 0
; VGPRBlocks: 2
; NumSGPRsForWavesPerEU: 21
; NumVGPRsForWavesPerEU: 21
; Occupancy: 16
; WaveLimiterHint : 1
; COMPUTE_PGM_RSRC2:SCRATCH_EN: 0
; COMPUTE_PGM_RSRC2:USER_SGPR: 6
; COMPUTE_PGM_RSRC2:TRAP_HANDLER: 0
; COMPUTE_PGM_RSRC2:TGID_X_EN: 1
; COMPUTE_PGM_RSRC2:TGID_Y_EN: 0
; COMPUTE_PGM_RSRC2:TGID_Z_EN: 0
; COMPUTE_PGM_RSRC2:TIDIG_COMP_CNT: 0
	.text
	.protected	_Z16gpu_chebyshev_01iPKdS0_S0_S0_PdS1_ddi ; -- Begin function _Z16gpu_chebyshev_01iPKdS0_S0_S0_PdS1_ddi
	.globl	_Z16gpu_chebyshev_01iPKdS0_S0_S0_PdS1_ddi
	.p2align	8
	.type	_Z16gpu_chebyshev_01iPKdS0_S0_S0_PdS1_ddi,@function
_Z16gpu_chebyshev_01iPKdS0_S0_S0_PdS1_ddi: ; @_Z16gpu_chebyshev_01iPKdS0_S0_S0_PdS1_ddi
; %bb.0:
	s_clause 0x1
	s_load_dword s0, s[4:5], 0x5c
	s_load_dword s1, s[4:5], 0x0
	s_waitcnt lgkmcnt(0)
	s_and_b32 s0, s0, 0xffff
	v_mad_u64_u32 v[0:1], null, s6, s0, v[0:1]
	s_mov_b32 s0, exec_lo
	v_cmpx_gt_i32_e64 s1, v0
	s_cbranch_execz .LBB3_2
; %bb.1:
	s_load_dwordx8 s[8:15], s[4:5], 0x8
	v_ashrrev_i32_e32 v1, 31, v0
	s_load_dword s0, s[4:5], 0x48
	v_lshlrev_b64 v[0:1], 3, v[0:1]
	s_waitcnt lgkmcnt(0)
	v_add_co_u32 v2, vcc_lo, s14, v0
	v_add_co_ci_u32_e64 v3, null, s15, v1, vcc_lo
	v_add_co_u32 v4, vcc_lo, s12, v0
	v_add_co_ci_u32_e64 v5, null, s13, v1, vcc_lo
	global_load_dwordx2 v[2:3], v[2:3], off
	global_load_dwordx2 v[4:5], v[4:5], off
	v_add_co_u32 v6, vcc_lo, s8, v0
	v_add_co_ci_u32_e64 v7, null, s9, v1, vcc_lo
	v_add_co_u32 v8, vcc_lo, s10, v0
	v_add_co_ci_u32_e64 v9, null, s11, v1, vcc_lo
	global_load_dwordx2 v[6:7], v[6:7], off
	global_load_dwordx2 v[8:9], v[8:9], off
	v_cvt_f64_i32_e32 v[10:11], s0
	s_load_dwordx8 s[0:7], s[4:5], 0x28
	s_waitcnt lgkmcnt(0)
	v_mul_f64 v[10:11], s[6:7], v[10:11]
	s_waitcnt vmcnt(3)
	v_mul_f64 v[2:3], v[10:11], v[2:3]
	s_waitcnt vmcnt(2)
	;; [unrolled: 2-line block ×3, first 2 shown]
	v_fma_f64 v[2:3], s[4:5], v[6:7], v[2:3]
	s_waitcnt vmcnt(0)
	v_fma_f64 v[4:5], s[4:5], v[8:9], -v[4:5]
	v_add_co_u32 v6, vcc_lo, s0, v0
	v_add_co_ci_u32_e64 v7, null, s1, v1, vcc_lo
	v_add_co_u32 v0, vcc_lo, s2, v0
	v_add_co_ci_u32_e64 v1, null, s3, v1, vcc_lo
	global_store_dwordx2 v[6:7], v[2:3], off
	global_store_dwordx2 v[0:1], v[4:5], off
.LBB3_2:
	s_endpgm
	.section	.rodata,"a",@progbits
	.p2align	6, 0x0
	.amdhsa_kernel _Z16gpu_chebyshev_01iPKdS0_S0_S0_PdS1_ddi
		.amdhsa_group_segment_fixed_size 0
		.amdhsa_private_segment_fixed_size 0
		.amdhsa_kernarg_size 336
		.amdhsa_user_sgpr_count 6
		.amdhsa_user_sgpr_private_segment_buffer 1
		.amdhsa_user_sgpr_dispatch_ptr 0
		.amdhsa_user_sgpr_queue_ptr 0
		.amdhsa_user_sgpr_kernarg_segment_ptr 1
		.amdhsa_user_sgpr_dispatch_id 0
		.amdhsa_user_sgpr_flat_scratch_init 0
		.amdhsa_user_sgpr_private_segment_size 0
		.amdhsa_wavefront_size32 1
		.amdhsa_uses_dynamic_stack 0
		.amdhsa_system_sgpr_private_segment_wavefront_offset 0
		.amdhsa_system_sgpr_workgroup_id_x 1
		.amdhsa_system_sgpr_workgroup_id_y 0
		.amdhsa_system_sgpr_workgroup_id_z 0
		.amdhsa_system_sgpr_workgroup_info 0
		.amdhsa_system_vgpr_workitem_id 0
		.amdhsa_next_free_vgpr 12
		.amdhsa_next_free_sgpr 16
		.amdhsa_reserve_vcc 1
		.amdhsa_reserve_flat_scratch 0
		.amdhsa_float_round_mode_32 0
		.amdhsa_float_round_mode_16_64 0
		.amdhsa_float_denorm_mode_32 3
		.amdhsa_float_denorm_mode_16_64 3
		.amdhsa_dx10_clamp 1
		.amdhsa_ieee_mode 1
		.amdhsa_fp16_overflow 0
		.amdhsa_workgroup_processor_mode 1
		.amdhsa_memory_ordered 1
		.amdhsa_forward_progress 1
		.amdhsa_shared_vgpr_count 0
		.amdhsa_exception_fp_ieee_invalid_op 0
		.amdhsa_exception_fp_denorm_src 0
		.amdhsa_exception_fp_ieee_div_zero 0
		.amdhsa_exception_fp_ieee_overflow 0
		.amdhsa_exception_fp_ieee_underflow 0
		.amdhsa_exception_fp_ieee_inexact 0
		.amdhsa_exception_int_div_zero 0
	.end_amdhsa_kernel
	.text
.Lfunc_end3:
	.size	_Z16gpu_chebyshev_01iPKdS0_S0_S0_PdS1_ddi, .Lfunc_end3-_Z16gpu_chebyshev_01iPKdS0_S0_S0_PdS1_ddi
                                        ; -- End function
	.set _Z16gpu_chebyshev_01iPKdS0_S0_S0_PdS1_ddi.num_vgpr, 12
	.set _Z16gpu_chebyshev_01iPKdS0_S0_S0_PdS1_ddi.num_agpr, 0
	.set _Z16gpu_chebyshev_01iPKdS0_S0_S0_PdS1_ddi.numbered_sgpr, 16
	.set _Z16gpu_chebyshev_01iPKdS0_S0_S0_PdS1_ddi.num_named_barrier, 0
	.set _Z16gpu_chebyshev_01iPKdS0_S0_S0_PdS1_ddi.private_seg_size, 0
	.set _Z16gpu_chebyshev_01iPKdS0_S0_S0_PdS1_ddi.uses_vcc, 1
	.set _Z16gpu_chebyshev_01iPKdS0_S0_S0_PdS1_ddi.uses_flat_scratch, 0
	.set _Z16gpu_chebyshev_01iPKdS0_S0_S0_PdS1_ddi.has_dyn_sized_stack, 0
	.set _Z16gpu_chebyshev_01iPKdS0_S0_S0_PdS1_ddi.has_recursion, 0
	.set _Z16gpu_chebyshev_01iPKdS0_S0_S0_PdS1_ddi.has_indirect_call, 0
	.section	.AMDGPU.csdata,"",@progbits
; Kernel info:
; codeLenInByte = 308
; TotalNumSgprs: 18
; NumVgprs: 12
; ScratchSize: 0
; MemoryBound: 0
; FloatMode: 240
; IeeeMode: 1
; LDSByteSize: 0 bytes/workgroup (compile time only)
; SGPRBlocks: 0
; VGPRBlocks: 1
; NumSGPRsForWavesPerEU: 18
; NumVGPRsForWavesPerEU: 12
; Occupancy: 16
; WaveLimiterHint : 0
; COMPUTE_PGM_RSRC2:SCRATCH_EN: 0
; COMPUTE_PGM_RSRC2:USER_SGPR: 6
; COMPUTE_PGM_RSRC2:TRAP_HANDLER: 0
; COMPUTE_PGM_RSRC2:TGID_X_EN: 1
; COMPUTE_PGM_RSRC2:TGID_Y_EN: 0
; COMPUTE_PGM_RSRC2:TGID_Z_EN: 0
; COMPUTE_PGM_RSRC2:TIDIG_COMP_CNT: 0
	.text
	.protected	_Z15gpu_chebyshev_2idPKiS0_PKdS2_S2_S2_S2_S2_S2_PdS3_S3_S3_di ; -- Begin function _Z15gpu_chebyshev_2idPKiS0_PKdS2_S2_S2_S2_S2_S2_PdS3_S3_S3_di
	.globl	_Z15gpu_chebyshev_2idPKiS0_PKdS2_S2_S2_S2_S2_S2_PdS3_S3_S3_di
	.p2align	8
	.type	_Z15gpu_chebyshev_2idPKiS0_PKdS2_S2_S2_S2_S2_S2_PdS3_S3_S3_di,@function
_Z15gpu_chebyshev_2idPKiS0_PKdS2_S2_S2_S2_S2_S2_PdS3_S3_S3_di: ; @_Z15gpu_chebyshev_2idPKiS0_PKdS2_S2_S2_S2_S2_S2_PdS3_S3_S3_di
; %bb.0:
	s_clause 0x1
	s_load_dword s0, s[4:5], 0x94
	s_load_dword s24, s[4:5], 0x0
	s_waitcnt lgkmcnt(0)
	s_and_b32 s0, s0, 0xffff
	v_mad_u64_u32 v[6:7], null, s6, s0, v[0:1]
	s_mov_b32 s0, exec_lo
	v_cmpx_gt_i32_e64 s24, v6
	s_cbranch_execz .LBB4_20
; %bb.1:
	s_clause 0x1
	s_load_dwordx2 s[0:1], s[4:5], 0x20
	s_load_dwordx8 s[16:23], s[4:5], 0x38
	v_ashrrev_i32_e32 v7, 31, v6
	s_clause 0x1
	s_load_dwordx2 s[2:3], s[4:5], 0x10
	s_load_dwordx8 s[8:15], s[4:5], 0x58
	s_mov_b32 s26, 0
	s_mov_b32 s25, exec_lo
	v_lshlrev_b64 v[0:1], 3, v[6:7]
	s_waitcnt lgkmcnt(0)
	v_add_co_u32 v2, vcc_lo, s0, v0
	v_add_co_ci_u32_e64 v3, null, s1, v1, vcc_lo
	v_add_co_u32 v4, vcc_lo, s20, v0
	v_add_co_ci_u32_e64 v5, null, s21, v1, vcc_lo
	;; [unrolled: 2-line block ×3, first 2 shown]
	global_load_dwordx2 v[10:11], v[2:3], off
	global_load_dwordx2 v[2:3], v[4:5], off
	;; [unrolled: 1-line block ×3, first 2 shown]
	v_lshlrev_b64 v[7:8], 2, v[6:7]
	v_add_co_u32 v7, vcc_lo, s2, v7
	v_add_co_ci_u32_e64 v8, null, s3, v8, vcc_lo
	global_load_dword v8, v[7:8], off
	s_waitcnt vmcnt(2)
	v_mul_f64 v[2:3], v[10:11], v[2:3]
	s_waitcnt vmcnt(1)
	v_mul_f64 v[4:5], v[10:11], v[4:5]
	s_waitcnt vmcnt(0)
	v_cmpx_lt_i32_e32 0, v8
	s_cbranch_execz .LBB4_5
; %bb.2:
	s_clause 0x1
	s_load_dwordx2 s[6:7], s[4:5], 0x18
	s_load_dwordx4 s[0:3], s[4:5], 0x28
.LBB4_3:                                ; =>This Inner Loop Header: Depth=1
	v_ashrrev_i32_e32 v7, 31, v6
	v_add_nc_u32_e32 v8, -1, v8
	v_lshlrev_b64 v[9:10], 2, v[6:7]
	v_lshlrev_b64 v[11:12], 3, v[6:7]
	v_add_nc_u32_e32 v6, s24, v6
	s_waitcnt lgkmcnt(0)
	v_add_co_u32 v9, vcc_lo, s6, v9
	v_add_co_ci_u32_e64 v10, null, s7, v10, vcc_lo
	v_add_co_u32 v13, vcc_lo, s2, v11
	v_add_co_ci_u32_e64 v14, null, s3, v12, vcc_lo
	global_load_dword v9, v[9:10], off
	s_waitcnt vmcnt(0)
	v_ashrrev_i32_e32 v10, 31, v9
	v_lshlrev_b64 v[9:10], 3, v[9:10]
	v_add_co_u32 v15, vcc_lo, s22, v9
	v_add_co_ci_u32_e64 v16, null, s23, v10, vcc_lo
	v_add_co_u32 v11, vcc_lo, s0, v11
	v_add_co_ci_u32_e64 v12, null, s1, v12, vcc_lo
	global_load_dwordx2 v[13:14], v[13:14], off
	global_load_dwordx2 v[15:16], v[15:16], off
	;; [unrolled: 1-line block ×3, first 2 shown]
	v_add_co_u32 v9, vcc_lo, s20, v9
	v_add_co_ci_u32_e64 v10, null, s21, v10, vcc_lo
	v_cmp_eq_u32_e32 vcc_lo, 0, v8
	global_load_dwordx2 v[9:10], v[9:10], off
	s_or_b32 s26, vcc_lo, s26
	s_waitcnt vmcnt(2)
	v_mul_f64 v[17:18], v[13:14], v[15:16]
	s_waitcnt vmcnt(1)
	v_mul_f64 v[15:16], v[11:12], v[15:16]
	s_waitcnt vmcnt(0)
	v_fma_f64 v[11:12], v[11:12], v[9:10], -v[17:18]
	v_fma_f64 v[9:10], v[13:14], v[9:10], v[15:16]
	v_add_f64 v[2:3], v[2:3], v[11:12]
	v_add_f64 v[4:5], v[4:5], v[9:10]
	s_andn2_b32 exec_lo, exec_lo, s26
	s_cbranch_execnz .LBB4_3
; %bb.4:
	s_or_b32 exec_lo, exec_lo, s26
.LBB4_5:
	s_or_b32 exec_lo, exec_lo, s25
	v_add_co_u32 v6, vcc_lo, s16, v0
	v_add_co_ci_u32_e64 v7, null, s17, v1, vcc_lo
	v_add_co_u32 v8, vcc_lo, s18, v0
	v_add_co_ci_u32_e64 v9, null, s19, v1, vcc_lo
	global_load_dwordx2 v[6:7], v[6:7], off
	global_load_dwordx2 v[8:9], v[8:9], off
	s_clause 0x2
	s_load_dwordx2 s[6:7], s[4:5], 0x8
	s_load_dwordx2 s[2:3], s[4:5], 0x78
	s_load_dword s1, s[4:5], 0x80
	s_waitcnt lgkmcnt(0)
	v_div_scale_f64 v[10:11], null, s[6:7], s[6:7], v[2:3]
	v_div_scale_f64 v[12:13], null, s[6:7], s[6:7], v[4:5]
	v_div_scale_f64 v[22:23], vcc_lo, v[2:3], s[6:7], v[2:3]
	s_cmp_lt_i32 s1, 3
	v_rcp_f64_e32 v[14:15], v[10:11]
	v_rcp_f64_e32 v[16:17], v[12:13]
	v_fma_f64 v[18:19], -v[10:11], v[14:15], 1.0
	v_fma_f64 v[20:21], -v[12:13], v[16:17], 1.0
	v_fma_f64 v[14:15], v[14:15], v[18:19], v[14:15]
	v_fma_f64 v[16:17], v[16:17], v[20:21], v[16:17]
	v_fma_f64 v[18:19], -v[10:11], v[14:15], 1.0
	v_fma_f64 v[20:21], -v[12:13], v[16:17], 1.0
	v_fma_f64 v[14:15], v[14:15], v[18:19], v[14:15]
	v_div_scale_f64 v[18:19], s0, v[4:5], s[6:7], v[4:5]
	v_fma_f64 v[16:17], v[16:17], v[20:21], v[16:17]
	v_mul_f64 v[20:21], v[22:23], v[14:15]
	v_mul_f64 v[24:25], v[18:19], v[16:17]
	v_fma_f64 v[10:11], -v[10:11], v[20:21], v[22:23]
	v_fma_f64 v[12:13], -v[12:13], v[24:25], v[18:19]
	v_div_fmas_f64 v[10:11], v[10:11], v[14:15], v[20:21]
	s_mov_b32 vcc_lo, s0
	s_mov_b32 s0, -1
	v_div_fmas_f64 v[12:13], v[12:13], v[16:17], v[24:25]
	v_div_fixup_f64 v[2:3], v[10:11], s[6:7], v[2:3]
	v_div_fixup_f64 v[10:11], v[12:13], s[6:7], v[4:5]
	s_waitcnt vmcnt(1)
	v_fma_f64 v[4:5], v[2:3], 2.0, -v[6:7]
	s_waitcnt vmcnt(0)
	v_fma_f64 v[2:3], v[10:11], 2.0, -v[8:9]
	s_cbranch_scc1 .LBB4_13
; %bb.6:
	s_cmp_lt_i32 s1, 4
	s_cbranch_scc1 .LBB4_10
; %bb.7:
	s_cmp_eq_u32 s1, 4
	s_cbranch_scc0 .LBB4_9
; %bb.8:
	v_add_co_u32 v6, vcc_lo, s12, v0
	v_add_co_ci_u32_e64 v7, null, s13, v1, vcc_lo
	v_add_co_u32 v8, vcc_lo, s14, v0
	v_add_co_ci_u32_e64 v9, null, s15, v1, vcc_lo
	global_load_dwordx2 v[10:11], v[6:7], off
	global_load_dwordx2 v[12:13], v[8:9], off
	s_waitcnt vmcnt(1)
	v_fma_f64 v[10:11], -s[2:3], v[2:3], v[10:11]
	s_waitcnt vmcnt(0)
	v_fma_f64 v[12:13], s[2:3], v[4:5], v[12:13]
	global_store_dwordx2 v[6:7], v[10:11], off
	global_store_dwordx2 v[8:9], v[12:13], off
.LBB4_9:
	s_mov_b32 s0, 0
.LBB4_10:
	s_andn2_b32 vcc_lo, exec_lo, s0
	s_cbranch_vccnz .LBB4_12
; %bb.11:
	v_add_co_u32 v6, vcc_lo, s12, v0
	v_add_co_ci_u32_e64 v7, null, s13, v1, vcc_lo
	v_add_co_u32 v8, vcc_lo, s14, v0
	v_add_co_ci_u32_e64 v9, null, s15, v1, vcc_lo
	global_load_dwordx2 v[10:11], v[6:7], off
	global_load_dwordx2 v[12:13], v[8:9], off
	s_waitcnt vmcnt(1)
	v_fma_f64 v[10:11], s[2:3], v[2:3], v[10:11]
	s_waitcnt vmcnt(0)
	v_fma_f64 v[12:13], -s[2:3], v[4:5], v[12:13]
	global_store_dwordx2 v[6:7], v[10:11], off
	global_store_dwordx2 v[8:9], v[12:13], off
.LBB4_12:
	s_mov_b32 s0, 0
.LBB4_13:
	s_andn2_b32 vcc_lo, exec_lo, s0
	s_cbranch_vccnz .LBB4_19
; %bb.14:
	s_cmp_gt_i32 s1, 1
	s_mov_b32 s0, -1
	s_cbranch_scc0 .LBB4_16
; %bb.15:
	v_add_co_u32 v6, vcc_lo, s12, v0
	v_add_co_ci_u32_e64 v7, null, s13, v1, vcc_lo
	v_add_co_u32 v8, vcc_lo, s14, v0
	v_add_co_ci_u32_e64 v9, null, s15, v1, vcc_lo
	global_load_dwordx2 v[10:11], v[6:7], off
	global_load_dwordx2 v[12:13], v[8:9], off
	s_mov_b32 s0, 0
	s_waitcnt vmcnt(1)
	v_fma_f64 v[10:11], -s[2:3], v[4:5], v[10:11]
	s_waitcnt vmcnt(0)
	v_fma_f64 v[12:13], -s[2:3], v[2:3], v[12:13]
	global_store_dwordx2 v[6:7], v[10:11], off
	global_store_dwordx2 v[8:9], v[12:13], off
.LBB4_16:
	s_andn2_b32 vcc_lo, exec_lo, s0
	s_cbranch_vccnz .LBB4_19
; %bb.17:
	s_cmp_eq_u32 s1, 1
	s_cbranch_scc0 .LBB4_19
; %bb.18:
	v_add_co_u32 v6, vcc_lo, s12, v0
	v_add_co_ci_u32_e64 v7, null, s13, v1, vcc_lo
	v_add_co_u32 v8, vcc_lo, s14, v0
	v_add_co_ci_u32_e64 v9, null, s15, v1, vcc_lo
	global_load_dwordx2 v[10:11], v[6:7], off
	global_load_dwordx2 v[12:13], v[8:9], off
	s_waitcnt vmcnt(1)
	v_fma_f64 v[10:11], s[2:3], v[4:5], v[10:11]
	s_waitcnt vmcnt(0)
	v_fma_f64 v[12:13], s[2:3], v[2:3], v[12:13]
	global_store_dwordx2 v[6:7], v[10:11], off
	global_store_dwordx2 v[8:9], v[12:13], off
.LBB4_19:
	v_add_co_u32 v6, vcc_lo, s8, v0
	v_add_co_ci_u32_e64 v7, null, s9, v1, vcc_lo
	v_add_co_u32 v0, vcc_lo, s10, v0
	v_add_co_ci_u32_e64 v1, null, s11, v1, vcc_lo
	global_store_dwordx2 v[6:7], v[4:5], off
	global_store_dwordx2 v[0:1], v[2:3], off
.LBB4_20:
	s_endpgm
	.section	.rodata,"a",@progbits
	.p2align	6, 0x0
	.amdhsa_kernel _Z15gpu_chebyshev_2idPKiS0_PKdS2_S2_S2_S2_S2_S2_PdS3_S3_S3_di
		.amdhsa_group_segment_fixed_size 0
		.amdhsa_private_segment_fixed_size 0
		.amdhsa_kernarg_size 392
		.amdhsa_user_sgpr_count 6
		.amdhsa_user_sgpr_private_segment_buffer 1
		.amdhsa_user_sgpr_dispatch_ptr 0
		.amdhsa_user_sgpr_queue_ptr 0
		.amdhsa_user_sgpr_kernarg_segment_ptr 1
		.amdhsa_user_sgpr_dispatch_id 0
		.amdhsa_user_sgpr_flat_scratch_init 0
		.amdhsa_user_sgpr_private_segment_size 0
		.amdhsa_wavefront_size32 1
		.amdhsa_uses_dynamic_stack 0
		.amdhsa_system_sgpr_private_segment_wavefront_offset 0
		.amdhsa_system_sgpr_workgroup_id_x 1
		.amdhsa_system_sgpr_workgroup_id_y 0
		.amdhsa_system_sgpr_workgroup_id_z 0
		.amdhsa_system_sgpr_workgroup_info 0
		.amdhsa_system_vgpr_workitem_id 0
		.amdhsa_next_free_vgpr 26
		.amdhsa_next_free_sgpr 27
		.amdhsa_reserve_vcc 1
		.amdhsa_reserve_flat_scratch 0
		.amdhsa_float_round_mode_32 0
		.amdhsa_float_round_mode_16_64 0
		.amdhsa_float_denorm_mode_32 3
		.amdhsa_float_denorm_mode_16_64 3
		.amdhsa_dx10_clamp 1
		.amdhsa_ieee_mode 1
		.amdhsa_fp16_overflow 0
		.amdhsa_workgroup_processor_mode 1
		.amdhsa_memory_ordered 1
		.amdhsa_forward_progress 1
		.amdhsa_shared_vgpr_count 0
		.amdhsa_exception_fp_ieee_invalid_op 0
		.amdhsa_exception_fp_denorm_src 0
		.amdhsa_exception_fp_ieee_div_zero 0
		.amdhsa_exception_fp_ieee_overflow 0
		.amdhsa_exception_fp_ieee_underflow 0
		.amdhsa_exception_fp_ieee_inexact 0
		.amdhsa_exception_int_div_zero 0
	.end_amdhsa_kernel
	.text
.Lfunc_end4:
	.size	_Z15gpu_chebyshev_2idPKiS0_PKdS2_S2_S2_S2_S2_S2_PdS3_S3_S3_di, .Lfunc_end4-_Z15gpu_chebyshev_2idPKiS0_PKdS2_S2_S2_S2_S2_S2_PdS3_S3_S3_di
                                        ; -- End function
	.set _Z15gpu_chebyshev_2idPKiS0_PKdS2_S2_S2_S2_S2_S2_PdS3_S3_S3_di.num_vgpr, 26
	.set _Z15gpu_chebyshev_2idPKiS0_PKdS2_S2_S2_S2_S2_S2_PdS3_S3_S3_di.num_agpr, 0
	.set _Z15gpu_chebyshev_2idPKiS0_PKdS2_S2_S2_S2_S2_S2_PdS3_S3_S3_di.numbered_sgpr, 27
	.set _Z15gpu_chebyshev_2idPKiS0_PKdS2_S2_S2_S2_S2_S2_PdS3_S3_S3_di.num_named_barrier, 0
	.set _Z15gpu_chebyshev_2idPKiS0_PKdS2_S2_S2_S2_S2_S2_PdS3_S3_S3_di.private_seg_size, 0
	.set _Z15gpu_chebyshev_2idPKiS0_PKdS2_S2_S2_S2_S2_S2_PdS3_S3_S3_di.uses_vcc, 1
	.set _Z15gpu_chebyshev_2idPKiS0_PKdS2_S2_S2_S2_S2_S2_PdS3_S3_S3_di.uses_flat_scratch, 0
	.set _Z15gpu_chebyshev_2idPKiS0_PKdS2_S2_S2_S2_S2_S2_PdS3_S3_S3_di.has_dyn_sized_stack, 0
	.set _Z15gpu_chebyshev_2idPKiS0_PKdS2_S2_S2_S2_S2_S2_PdS3_S3_S3_di.has_recursion, 0
	.set _Z15gpu_chebyshev_2idPKiS0_PKdS2_S2_S2_S2_S2_S2_PdS3_S3_S3_di.has_indirect_call, 0
	.section	.AMDGPU.csdata,"",@progbits
; Kernel info:
; codeLenInByte = 1296
; TotalNumSgprs: 29
; NumVgprs: 26
; ScratchSize: 0
; MemoryBound: 0
; FloatMode: 240
; IeeeMode: 1
; LDSByteSize: 0 bytes/workgroup (compile time only)
; SGPRBlocks: 0
; VGPRBlocks: 3
; NumSGPRsForWavesPerEU: 29
; NumVGPRsForWavesPerEU: 26
; Occupancy: 16
; WaveLimiterHint : 1
; COMPUTE_PGM_RSRC2:SCRATCH_EN: 0
; COMPUTE_PGM_RSRC2:USER_SGPR: 6
; COMPUTE_PGM_RSRC2:TRAP_HANDLER: 0
; COMPUTE_PGM_RSRC2:TGID_X_EN: 1
; COMPUTE_PGM_RSRC2:TGID_Y_EN: 0
; COMPUTE_PGM_RSRC2:TGID_Z_EN: 0
; COMPUTE_PGM_RSRC2:TIDIG_COMP_CNT: 0
	.text
	.protected	_Z16gpu_chebyshev_1xiPKdS0_PdS1_d ; -- Begin function _Z16gpu_chebyshev_1xiPKdS0_PdS1_d
	.globl	_Z16gpu_chebyshev_1xiPKdS0_PdS1_d
	.p2align	8
	.type	_Z16gpu_chebyshev_1xiPKdS0_PdS1_d,@function
_Z16gpu_chebyshev_1xiPKdS0_PdS1_d:      ; @_Z16gpu_chebyshev_1xiPKdS0_PdS1_d
; %bb.0:
	s_clause 0x1
	s_load_dword s0, s[4:5], 0x3c
	s_load_dword s1, s[4:5], 0x0
	s_waitcnt lgkmcnt(0)
	s_and_b32 s0, s0, 0xffff
	v_mad_u64_u32 v[0:1], null, s6, s0, v[0:1]
	s_mov_b32 s0, exec_lo
	v_cmpx_gt_i32_e64 s1, v0
	s_cbranch_execz .LBB5_2
; %bb.1:
	s_load_dwordx8 s[8:15], s[4:5], 0x8
	v_ashrrev_i32_e32 v1, 31, v0
	s_load_dwordx2 s[0:1], s[4:5], 0x28
	v_lshlrev_b64 v[0:1], 3, v[0:1]
	s_waitcnt lgkmcnt(0)
	v_add_co_u32 v2, vcc_lo, s10, v0
	v_add_co_ci_u32_e64 v3, null, s11, v1, vcc_lo
	v_add_co_u32 v4, vcc_lo, s8, v0
	v_add_co_ci_u32_e64 v5, null, s9, v1, vcc_lo
	global_load_dwordx2 v[2:3], v[2:3], off
	global_load_dwordx2 v[4:5], v[4:5], off
	v_add_co_u32 v6, vcc_lo, s12, v0
	v_add_co_ci_u32_e64 v7, null, s13, v1, vcc_lo
	v_add_co_u32 v0, vcc_lo, s14, v0
	v_add_co_ci_u32_e64 v1, null, s15, v1, vcc_lo
	s_waitcnt vmcnt(1)
	v_mul_f64 v[2:3], s[0:1], v[2:3]
	s_waitcnt vmcnt(0)
	v_mul_f64 v[4:5], v[4:5], -s[0:1]
	global_store_dwordx2 v[6:7], v[2:3], off
	global_store_dwordx2 v[0:1], v[4:5], off
.LBB5_2:
	s_endpgm
	.section	.rodata,"a",@progbits
	.p2align	6, 0x0
	.amdhsa_kernel _Z16gpu_chebyshev_1xiPKdS0_PdS1_d
		.amdhsa_group_segment_fixed_size 0
		.amdhsa_private_segment_fixed_size 0
		.amdhsa_kernarg_size 304
		.amdhsa_user_sgpr_count 6
		.amdhsa_user_sgpr_private_segment_buffer 1
		.amdhsa_user_sgpr_dispatch_ptr 0
		.amdhsa_user_sgpr_queue_ptr 0
		.amdhsa_user_sgpr_kernarg_segment_ptr 1
		.amdhsa_user_sgpr_dispatch_id 0
		.amdhsa_user_sgpr_flat_scratch_init 0
		.amdhsa_user_sgpr_private_segment_size 0
		.amdhsa_wavefront_size32 1
		.amdhsa_uses_dynamic_stack 0
		.amdhsa_system_sgpr_private_segment_wavefront_offset 0
		.amdhsa_system_sgpr_workgroup_id_x 1
		.amdhsa_system_sgpr_workgroup_id_y 0
		.amdhsa_system_sgpr_workgroup_id_z 0
		.amdhsa_system_sgpr_workgroup_info 0
		.amdhsa_system_vgpr_workitem_id 0
		.amdhsa_next_free_vgpr 8
		.amdhsa_next_free_sgpr 16
		.amdhsa_reserve_vcc 1
		.amdhsa_reserve_flat_scratch 0
		.amdhsa_float_round_mode_32 0
		.amdhsa_float_round_mode_16_64 0
		.amdhsa_float_denorm_mode_32 3
		.amdhsa_float_denorm_mode_16_64 3
		.amdhsa_dx10_clamp 1
		.amdhsa_ieee_mode 1
		.amdhsa_fp16_overflow 0
		.amdhsa_workgroup_processor_mode 1
		.amdhsa_memory_ordered 1
		.amdhsa_forward_progress 1
		.amdhsa_shared_vgpr_count 0
		.amdhsa_exception_fp_ieee_invalid_op 0
		.amdhsa_exception_fp_denorm_src 0
		.amdhsa_exception_fp_ieee_div_zero 0
		.amdhsa_exception_fp_ieee_overflow 0
		.amdhsa_exception_fp_ieee_underflow 0
		.amdhsa_exception_fp_ieee_inexact 0
		.amdhsa_exception_int_div_zero 0
	.end_amdhsa_kernel
	.text
.Lfunc_end5:
	.size	_Z16gpu_chebyshev_1xiPKdS0_PdS1_d, .Lfunc_end5-_Z16gpu_chebyshev_1xiPKdS0_PdS1_d
                                        ; -- End function
	.set _Z16gpu_chebyshev_1xiPKdS0_PdS1_d.num_vgpr, 8
	.set _Z16gpu_chebyshev_1xiPKdS0_PdS1_d.num_agpr, 0
	.set _Z16gpu_chebyshev_1xiPKdS0_PdS1_d.numbered_sgpr, 16
	.set _Z16gpu_chebyshev_1xiPKdS0_PdS1_d.num_named_barrier, 0
	.set _Z16gpu_chebyshev_1xiPKdS0_PdS1_d.private_seg_size, 0
	.set _Z16gpu_chebyshev_1xiPKdS0_PdS1_d.uses_vcc, 1
	.set _Z16gpu_chebyshev_1xiPKdS0_PdS1_d.uses_flat_scratch, 0
	.set _Z16gpu_chebyshev_1xiPKdS0_PdS1_d.has_dyn_sized_stack, 0
	.set _Z16gpu_chebyshev_1xiPKdS0_PdS1_d.has_recursion, 0
	.set _Z16gpu_chebyshev_1xiPKdS0_PdS1_d.has_indirect_call, 0
	.section	.AMDGPU.csdata,"",@progbits
; Kernel info:
; codeLenInByte = 212
; TotalNumSgprs: 18
; NumVgprs: 8
; ScratchSize: 0
; MemoryBound: 0
; FloatMode: 240
; IeeeMode: 1
; LDSByteSize: 0 bytes/workgroup (compile time only)
; SGPRBlocks: 0
; VGPRBlocks: 0
; NumSGPRsForWavesPerEU: 18
; NumVGPRsForWavesPerEU: 8
; Occupancy: 16
; WaveLimiterHint : 0
; COMPUTE_PGM_RSRC2:SCRATCH_EN: 0
; COMPUTE_PGM_RSRC2:USER_SGPR: 6
; COMPUTE_PGM_RSRC2:TRAP_HANDLER: 0
; COMPUTE_PGM_RSRC2:TGID_X_EN: 1
; COMPUTE_PGM_RSRC2:TGID_Y_EN: 0
; COMPUTE_PGM_RSRC2:TGID_Z_EN: 0
; COMPUTE_PGM_RSRC2:TIDIG_COMP_CNT: 0
	.text
	.protected	_Z16gpu_chebyshev_2xidPKiS0_PKdS2_S2_S2_S2_S2_S2_S2_S2_S2_S2_S2_PdS3_S3_S3_S3_S3_di ; -- Begin function _Z16gpu_chebyshev_2xidPKiS0_PKdS2_S2_S2_S2_S2_S2_S2_S2_S2_S2_S2_PdS3_S3_S3_S3_S3_di
	.globl	_Z16gpu_chebyshev_2xidPKiS0_PKdS2_S2_S2_S2_S2_S2_S2_S2_S2_S2_S2_PdS3_S3_S3_S3_S3_di
	.p2align	8
	.type	_Z16gpu_chebyshev_2xidPKiS0_PKdS2_S2_S2_S2_S2_S2_S2_S2_S2_S2_S2_PdS3_S3_S3_S3_S3_di,@function
_Z16gpu_chebyshev_2xidPKiS0_PKdS2_S2_S2_S2_S2_S2_S2_S2_S2_S2_S2_PdS3_S3_S3_S3_S3_di: ; @_Z16gpu_chebyshev_2xidPKiS0_PKdS2_S2_S2_S2_S2_S2_S2_S2_S2_S2_S2_PdS3_S3_S3_S3_S3_di
; %bb.0:
	s_clause 0x1
	s_load_dword s0, s[4:5], 0xcc
	s_load_dword s33, s[4:5], 0x0
	s_waitcnt lgkmcnt(0)
	s_and_b32 s0, s0, 0xffff
	v_mad_u64_u32 v[10:11], null, s6, s0, v[0:1]
	s_mov_b32 s0, exec_lo
	v_cmpx_gt_i32_e64 s33, v10
	s_cbranch_execz .LBB6_19
; %bb.1:
	s_clause 0x1
	s_load_dwordx2 s[0:1], s[4:5], 0x20
	s_load_dwordx8 s[24:31], s[4:5], 0x60
	v_ashrrev_i32_e32 v11, 31, v10
	s_clause 0x1
	s_load_dwordx2 s[2:3], s[4:5], 0x10
	s_load_dwordx4 s[36:39], s[4:5], 0xa0
	s_mov_b32 s41, 0
	s_mov_b32 s40, exec_lo
	v_lshlrev_b64 v[0:1], 3, v[10:11]
	s_waitcnt lgkmcnt(0)
	v_add_co_u32 v2, vcc_lo, s0, v0
	v_add_co_ci_u32_e64 v3, null, s1, v1, vcc_lo
	v_add_co_u32 v4, vcc_lo, s24, v0
	v_add_co_ci_u32_e64 v5, null, s25, v1, vcc_lo
	;; [unrolled: 2-line block ×5, first 2 shown]
	global_load_dwordx2 v[14:15], v[2:3], off
	global_load_dwordx2 v[2:3], v[4:5], off
	;; [unrolled: 1-line block ×5, first 2 shown]
	v_lshlrev_b64 v[11:12], 2, v[10:11]
	v_add_co_u32 v11, vcc_lo, s2, v11
	v_add_co_ci_u32_e64 v12, null, s3, v12, vcc_lo
	global_load_dword v12, v[11:12], off
	s_clause 0x1
	s_load_dwordx8 s[8:15], s[4:5], 0x80
	s_load_dwordx8 s[16:23], s[4:5], 0x40
	s_waitcnt vmcnt(4)
	v_mul_f64 v[2:3], v[14:15], v[2:3]
	s_waitcnt vmcnt(3)
	v_mul_f64 v[4:5], v[14:15], v[4:5]
	;; [unrolled: 2-line block ×4, first 2 shown]
	s_waitcnt vmcnt(0)
	v_cmpx_lt_i32_e32 0, v12
	s_cbranch_execz .LBB6_5
; %bb.2:
	s_clause 0x2
	s_load_dwordx2 s[6:7], s[4:5], 0x18
	s_load_dwordx4 s[0:3], s[4:5], 0x28
	s_load_dwordx2 s[34:35], s[4:5], 0x38
.LBB6_3:                                ; =>This Inner Loop Header: Depth=1
	v_ashrrev_i32_e32 v11, 31, v10
	v_add_nc_u32_e32 v12, -1, v12
	v_lshlrev_b64 v[13:14], 2, v[10:11]
	v_lshlrev_b64 v[15:16], 3, v[10:11]
	v_add_nc_u32_e32 v10, s33, v10
	s_waitcnt lgkmcnt(0)
	v_add_co_u32 v13, vcc_lo, s6, v13
	v_add_co_ci_u32_e64 v14, null, s7, v14, vcc_lo
	v_add_co_u32 v17, vcc_lo, s0, v15
	v_add_co_ci_u32_e64 v18, null, s1, v16, vcc_lo
	global_load_dword v13, v[13:14], off
	v_add_co_u32 v19, vcc_lo, s2, v15
	v_add_co_ci_u32_e64 v20, null, s3, v16, vcc_lo
	s_waitcnt vmcnt(0)
	v_ashrrev_i32_e32 v14, 31, v13
	v_lshlrev_b64 v[13:14], 3, v[13:14]
	v_add_co_u32 v21, vcc_lo, s30, v13
	v_add_co_ci_u32_e64 v22, null, s31, v14, vcc_lo
	global_load_dwordx2 v[17:18], v[17:18], off
	global_load_dwordx2 v[19:20], v[19:20], off
	;; [unrolled: 1-line block ×3, first 2 shown]
	v_add_co_u32 v23, vcc_lo, s26, v13
	v_add_co_ci_u32_e64 v24, null, s27, v14, vcc_lo
	v_add_co_u32 v25, vcc_lo, s28, v13
	v_add_co_ci_u32_e64 v26, null, s29, v14, vcc_lo
	global_load_dwordx2 v[23:24], v[23:24], off
	global_load_dwordx2 v[25:26], v[25:26], off
	v_add_co_u32 v13, vcc_lo, s24, v13
	v_add_co_ci_u32_e64 v14, null, s25, v14, vcc_lo
	v_add_co_u32 v15, vcc_lo, s34, v15
	v_add_co_ci_u32_e64 v16, null, s35, v16, vcc_lo
	global_load_dwordx2 v[13:14], v[13:14], off
	v_cmp_eq_u32_e32 vcc_lo, 0, v12
	global_load_dwordx2 v[15:16], v[15:16], off
	s_or_b32 s41, vcc_lo, s41
	s_waitcnt vmcnt(4)
	v_mul_f64 v[27:28], v[19:20], v[21:22]
	v_mul_f64 v[21:22], v[17:18], v[21:22]
	s_waitcnt vmcnt(3)
	v_mul_f64 v[29:30], v[19:20], v[23:24]
	v_mul_f64 v[23:24], v[17:18], v[23:24]
	s_waitcnt vmcnt(2)
	v_fma_f64 v[27:28], v[17:18], v[25:26], -v[27:28]
	v_fma_f64 v[21:22], v[19:20], v[25:26], v[21:22]
	s_waitcnt vmcnt(1)
	v_fma_f64 v[17:18], v[17:18], v[13:14], -v[29:30]
	v_fma_f64 v[13:14], v[19:20], v[13:14], v[23:24]
	v_add_f64 v[6:7], v[6:7], v[27:28]
	v_add_f64 v[8:9], v[8:9], v[21:22]
	;; [unrolled: 1-line block ×4, first 2 shown]
	s_waitcnt vmcnt(0)
	v_fma_f64 v[6:7], -v[17:18], v[15:16], v[6:7]
	v_fma_f64 v[8:9], -v[13:14], v[15:16], v[8:9]
	s_andn2_b32 exec_lo, exec_lo, s41
	s_cbranch_execnz .LBB6_3
; %bb.4:
	s_or_b32 exec_lo, exec_lo, s41
.LBB6_5:
	s_or_b32 exec_lo, exec_lo, s40
	s_waitcnt lgkmcnt(0)
	v_add_co_u32 v10, vcc_lo, s16, v0
	v_add_co_ci_u32_e64 v11, null, s17, v1, vcc_lo
	v_add_co_u32 v12, vcc_lo, s18, v0
	v_add_co_ci_u32_e64 v13, null, s19, v1, vcc_lo
	;; [unrolled: 2-line block ×4, first 2 shown]
	global_load_dwordx2 v[10:11], v[10:11], off
	global_load_dwordx2 v[12:13], v[12:13], off
	;; [unrolled: 1-line block ×4, first 2 shown]
	s_load_dwordx2 s[6:7], s[4:5], 0x8
	s_mov_b32 s3, -1
	s_waitcnt lgkmcnt(0)
	v_div_scale_f64 v[18:19], null, s[6:7], s[6:7], v[2:3]
	v_div_scale_f64 v[20:21], null, s[6:7], s[6:7], v[4:5]
	;; [unrolled: 1-line block ×4, first 2 shown]
	v_div_scale_f64 v[42:43], vcc_lo, v[2:3], s[6:7], v[2:3]
	v_rcp_f64_e32 v[26:27], v[18:19]
	v_rcp_f64_e32 v[28:29], v[20:21]
	;; [unrolled: 1-line block ×4, first 2 shown]
	v_fma_f64 v[34:35], -v[18:19], v[26:27], 1.0
	v_fma_f64 v[36:37], -v[20:21], v[28:29], 1.0
	;; [unrolled: 1-line block ×4, first 2 shown]
	v_fma_f64 v[26:27], v[26:27], v[34:35], v[26:27]
	v_fma_f64 v[28:29], v[28:29], v[36:37], v[28:29]
	;; [unrolled: 1-line block ×4, first 2 shown]
	v_fma_f64 v[34:35], -v[18:19], v[26:27], 1.0
	v_fma_f64 v[36:37], -v[20:21], v[28:29], 1.0
	;; [unrolled: 1-line block ×4, first 2 shown]
	v_fma_f64 v[26:27], v[26:27], v[34:35], v[26:27]
	v_div_scale_f64 v[34:35], s0, v[4:5], s[6:7], v[4:5]
	v_fma_f64 v[28:29], v[28:29], v[36:37], v[28:29]
	v_div_scale_f64 v[36:37], s1, v[6:7], s[6:7], v[6:7]
	;; [unrolled: 2-line block ×3, first 2 shown]
	v_fma_f64 v[32:33], v[32:33], v[40:41], v[32:33]
	v_mul_f64 v[40:41], v[42:43], v[26:27]
	v_mul_f64 v[44:45], v[34:35], v[28:29]
	;; [unrolled: 1-line block ×4, first 2 shown]
	v_fma_f64 v[18:19], -v[18:19], v[40:41], v[42:43]
	v_fma_f64 v[20:21], -v[20:21], v[44:45], v[34:35]
	;; [unrolled: 1-line block ×4, first 2 shown]
	v_div_fmas_f64 v[18:19], v[18:19], v[26:27], v[40:41]
	s_mov_b32 vcc_lo, s0
	v_div_fmas_f64 v[20:21], v[20:21], v[28:29], v[44:45]
	s_mov_b32 vcc_lo, s1
	;; [unrolled: 2-line block ×3, first 2 shown]
	v_div_fmas_f64 v[24:25], v[24:25], v[32:33], v[48:49]
	v_div_fixup_f64 v[2:3], v[18:19], s[6:7], v[2:3]
	v_div_fixup_f64 v[4:5], v[20:21], s[6:7], v[4:5]
	v_div_fixup_f64 v[6:7], v[22:23], s[6:7], v[6:7]
	v_div_fixup_f64 v[8:9], v[24:25], s[6:7], v[8:9]
	s_waitcnt vmcnt(3)
	v_fma_f64 v[10:11], v[2:3], 2.0, -v[10:11]
	s_waitcnt vmcnt(2)
	v_fma_f64 v[12:13], v[4:5], 2.0, -v[12:13]
	;; [unrolled: 2-line block ×4, first 2 shown]
	v_add_co_u32 v6, vcc_lo, s8, v0
	v_add_co_ci_u32_e64 v7, null, s9, v1, vcc_lo
	v_add_co_u32 v8, vcc_lo, s10, v0
	v_add_co_ci_u32_e64 v9, null, s11, v1, vcc_lo
	;; [unrolled: 2-line block ×4, first 2 shown]
	global_store_dwordx2 v[6:7], v[10:11], off
	global_store_dwordx2 v[8:9], v[12:13], off
	;; [unrolled: 1-line block ×4, first 2 shown]
	s_clause 0x1
	s_load_dword s2, s[4:5], 0xb8
	s_load_dwordx2 s[0:1], s[4:5], 0xb0
	s_waitcnt lgkmcnt(0)
	s_cmp_lt_i32 s2, 3
	s_cbranch_scc1 .LBB6_13
; %bb.6:
	s_cmp_lt_i32 s2, 4
	s_cbranch_scc1 .LBB6_10
; %bb.7:
	s_cmp_eq_u32 s2, 4
	s_cbranch_scc0 .LBB6_9
; %bb.8:
	v_add_co_u32 v6, vcc_lo, s36, v0
	v_add_co_ci_u32_e64 v7, null, s37, v1, vcc_lo
	v_add_co_u32 v8, vcc_lo, s38, v0
	v_add_co_ci_u32_e64 v9, null, s39, v1, vcc_lo
	global_load_dwordx2 v[10:11], v[6:7], off
	global_load_dwordx2 v[12:13], v[8:9], off
	s_waitcnt vmcnt(1)
	v_fma_f64 v[10:11], -s[0:1], v[4:5], v[10:11]
	s_waitcnt vmcnt(0)
	v_fma_f64 v[12:13], s[0:1], v[2:3], v[12:13]
	global_store_dwordx2 v[6:7], v[10:11], off
	global_store_dwordx2 v[8:9], v[12:13], off
.LBB6_9:
	s_mov_b32 s3, 0
.LBB6_10:
	s_andn2_b32 vcc_lo, exec_lo, s3
	s_cbranch_vccnz .LBB6_12
; %bb.11:
	v_add_co_u32 v6, vcc_lo, s36, v0
	v_add_co_ci_u32_e64 v7, null, s37, v1, vcc_lo
	v_add_co_u32 v8, vcc_lo, s38, v0
	v_add_co_ci_u32_e64 v9, null, s39, v1, vcc_lo
	global_load_dwordx2 v[10:11], v[6:7], off
	global_load_dwordx2 v[12:13], v[8:9], off
	s_waitcnt vmcnt(1)
	v_fma_f64 v[10:11], s[0:1], v[4:5], v[10:11]
	s_waitcnt vmcnt(0)
	v_fma_f64 v[12:13], -s[0:1], v[2:3], v[12:13]
	global_store_dwordx2 v[6:7], v[10:11], off
	global_store_dwordx2 v[8:9], v[12:13], off
.LBB6_12:
	s_mov_b32 s3, 0
.LBB6_13:
	s_andn2_b32 vcc_lo, exec_lo, s3
	s_cbranch_vccnz .LBB6_19
; %bb.14:
	s_cmp_gt_i32 s2, 1
	s_mov_b32 s3, -1
	s_cbranch_scc0 .LBB6_16
; %bb.15:
	v_add_co_u32 v6, vcc_lo, s36, v0
	v_add_co_ci_u32_e64 v7, null, s37, v1, vcc_lo
	v_add_co_u32 v8, vcc_lo, s38, v0
	v_add_co_ci_u32_e64 v9, null, s39, v1, vcc_lo
	global_load_dwordx2 v[10:11], v[6:7], off
	global_load_dwordx2 v[12:13], v[8:9], off
	s_mov_b32 s3, 0
	s_waitcnt vmcnt(1)
	v_fma_f64 v[10:11], -s[0:1], v[2:3], v[10:11]
	s_waitcnt vmcnt(0)
	v_fma_f64 v[12:13], -s[0:1], v[4:5], v[12:13]
	global_store_dwordx2 v[6:7], v[10:11], off
	global_store_dwordx2 v[8:9], v[12:13], off
.LBB6_16:
	s_andn2_b32 vcc_lo, exec_lo, s3
	s_cbranch_vccnz .LBB6_19
; %bb.17:
	s_cmp_eq_u32 s2, 1
	s_cbranch_scc0 .LBB6_19
; %bb.18:
	v_add_co_u32 v6, vcc_lo, s36, v0
	v_add_co_ci_u32_e64 v7, null, s37, v1, vcc_lo
	v_add_co_u32 v0, vcc_lo, s38, v0
	v_add_co_ci_u32_e64 v1, null, s39, v1, vcc_lo
	global_load_dwordx2 v[8:9], v[6:7], off
	global_load_dwordx2 v[10:11], v[0:1], off
	s_waitcnt vmcnt(1)
	v_fma_f64 v[2:3], s[0:1], v[2:3], v[8:9]
	s_waitcnt vmcnt(0)
	v_fma_f64 v[4:5], s[0:1], v[4:5], v[10:11]
	global_store_dwordx2 v[6:7], v[2:3], off
	global_store_dwordx2 v[0:1], v[4:5], off
.LBB6_19:
	s_endpgm
	.section	.rodata,"a",@progbits
	.p2align	6, 0x0
	.amdhsa_kernel _Z16gpu_chebyshev_2xidPKiS0_PKdS2_S2_S2_S2_S2_S2_S2_S2_S2_S2_S2_PdS3_S3_S3_S3_S3_di
		.amdhsa_group_segment_fixed_size 0
		.amdhsa_private_segment_fixed_size 0
		.amdhsa_kernarg_size 448
		.amdhsa_user_sgpr_count 6
		.amdhsa_user_sgpr_private_segment_buffer 1
		.amdhsa_user_sgpr_dispatch_ptr 0
		.amdhsa_user_sgpr_queue_ptr 0
		.amdhsa_user_sgpr_kernarg_segment_ptr 1
		.amdhsa_user_sgpr_dispatch_id 0
		.amdhsa_user_sgpr_flat_scratch_init 0
		.amdhsa_user_sgpr_private_segment_size 0
		.amdhsa_wavefront_size32 1
		.amdhsa_uses_dynamic_stack 0
		.amdhsa_system_sgpr_private_segment_wavefront_offset 0
		.amdhsa_system_sgpr_workgroup_id_x 1
		.amdhsa_system_sgpr_workgroup_id_y 0
		.amdhsa_system_sgpr_workgroup_id_z 0
		.amdhsa_system_sgpr_workgroup_info 0
		.amdhsa_system_vgpr_workitem_id 0
		.amdhsa_next_free_vgpr 50
		.amdhsa_next_free_sgpr 42
		.amdhsa_reserve_vcc 1
		.amdhsa_reserve_flat_scratch 0
		.amdhsa_float_round_mode_32 0
		.amdhsa_float_round_mode_16_64 0
		.amdhsa_float_denorm_mode_32 3
		.amdhsa_float_denorm_mode_16_64 3
		.amdhsa_dx10_clamp 1
		.amdhsa_ieee_mode 1
		.amdhsa_fp16_overflow 0
		.amdhsa_workgroup_processor_mode 1
		.amdhsa_memory_ordered 1
		.amdhsa_forward_progress 1
		.amdhsa_shared_vgpr_count 0
		.amdhsa_exception_fp_ieee_invalid_op 0
		.amdhsa_exception_fp_denorm_src 0
		.amdhsa_exception_fp_ieee_div_zero 0
		.amdhsa_exception_fp_ieee_overflow 0
		.amdhsa_exception_fp_ieee_underflow 0
		.amdhsa_exception_fp_ieee_inexact 0
		.amdhsa_exception_int_div_zero 0
	.end_amdhsa_kernel
	.text
.Lfunc_end6:
	.size	_Z16gpu_chebyshev_2xidPKiS0_PKdS2_S2_S2_S2_S2_S2_S2_S2_S2_S2_S2_PdS3_S3_S3_S3_S3_di, .Lfunc_end6-_Z16gpu_chebyshev_2xidPKiS0_PKdS2_S2_S2_S2_S2_S2_S2_S2_S2_S2_S2_PdS3_S3_S3_S3_S3_di
                                        ; -- End function
	.set _Z16gpu_chebyshev_2xidPKiS0_PKdS2_S2_S2_S2_S2_S2_S2_S2_S2_S2_S2_PdS3_S3_S3_S3_S3_di.num_vgpr, 50
	.set _Z16gpu_chebyshev_2xidPKiS0_PKdS2_S2_S2_S2_S2_S2_S2_S2_S2_S2_S2_PdS3_S3_S3_S3_S3_di.num_agpr, 0
	.set _Z16gpu_chebyshev_2xidPKiS0_PKdS2_S2_S2_S2_S2_S2_S2_S2_S2_S2_S2_PdS3_S3_S3_S3_S3_di.numbered_sgpr, 42
	.set _Z16gpu_chebyshev_2xidPKiS0_PKdS2_S2_S2_S2_S2_S2_S2_S2_S2_S2_S2_PdS3_S3_S3_S3_S3_di.num_named_barrier, 0
	.set _Z16gpu_chebyshev_2xidPKiS0_PKdS2_S2_S2_S2_S2_S2_S2_S2_S2_S2_S2_PdS3_S3_S3_S3_S3_di.private_seg_size, 0
	.set _Z16gpu_chebyshev_2xidPKiS0_PKdS2_S2_S2_S2_S2_S2_S2_S2_S2_S2_S2_PdS3_S3_S3_S3_S3_di.uses_vcc, 1
	.set _Z16gpu_chebyshev_2xidPKiS0_PKdS2_S2_S2_S2_S2_S2_S2_S2_S2_S2_S2_PdS3_S3_S3_S3_S3_di.uses_flat_scratch, 0
	.set _Z16gpu_chebyshev_2xidPKiS0_PKdS2_S2_S2_S2_S2_S2_S2_S2_S2_S2_S2_PdS3_S3_S3_S3_S3_di.has_dyn_sized_stack, 0
	.set _Z16gpu_chebyshev_2xidPKiS0_PKdS2_S2_S2_S2_S2_S2_S2_S2_S2_S2_S2_PdS3_S3_S3_S3_S3_di.has_recursion, 0
	.set _Z16gpu_chebyshev_2xidPKiS0_PKdS2_S2_S2_S2_S2_S2_S2_S2_S2_S2_S2_PdS3_S3_S3_S3_S3_di.has_indirect_call, 0
	.section	.AMDGPU.csdata,"",@progbits
; Kernel info:
; codeLenInByte = 1844
; TotalNumSgprs: 44
; NumVgprs: 50
; ScratchSize: 0
; MemoryBound: 0
; FloatMode: 240
; IeeeMode: 1
; LDSByteSize: 0 bytes/workgroup (compile time only)
; SGPRBlocks: 0
; VGPRBlocks: 6
; NumSGPRsForWavesPerEU: 44
; NumVGPRsForWavesPerEU: 50
; Occupancy: 16
; WaveLimiterHint : 1
; COMPUTE_PGM_RSRC2:SCRATCH_EN: 0
; COMPUTE_PGM_RSRC2:USER_SGPR: 6
; COMPUTE_PGM_RSRC2:TRAP_HANDLER: 0
; COMPUTE_PGM_RSRC2:TGID_X_EN: 1
; COMPUTE_PGM_RSRC2:TGID_Y_EN: 0
; COMPUTE_PGM_RSRC2:TGID_Z_EN: 0
; COMPUTE_PGM_RSRC2:TIDIG_COMP_CNT: 0
	.text
	.protected	_Z21gpu_kernel_polynomialidPKiS0_PKdS2_S2_S2_S2_S2_S2_PdS3_ ; -- Begin function _Z21gpu_kernel_polynomialidPKiS0_PKdS2_S2_S2_S2_S2_S2_PdS3_
	.globl	_Z21gpu_kernel_polynomialidPKiS0_PKdS2_S2_S2_S2_S2_S2_PdS3_
	.p2align	8
	.type	_Z21gpu_kernel_polynomialidPKiS0_PKdS2_S2_S2_S2_S2_S2_PdS3_,@function
_Z21gpu_kernel_polynomialidPKiS0_PKdS2_S2_S2_S2_S2_S2_PdS3_: ; @_Z21gpu_kernel_polynomialidPKiS0_PKdS2_S2_S2_S2_S2_S2_PdS3_
; %bb.0:
	s_clause 0x1
	s_load_dword s0, s[4:5], 0x74
	s_load_dword s20, s[4:5], 0x0
	s_waitcnt lgkmcnt(0)
	s_and_b32 s0, s0, 0xffff
	v_mad_u64_u32 v[6:7], null, s6, s0, v[0:1]
	s_mov_b32 s0, exec_lo
	v_cmpx_gt_i32_e64 s20, v6
	s_cbranch_execz .LBB7_6
; %bb.1:
	s_clause 0x1
	s_load_dwordx2 s[0:1], s[4:5], 0x20
	s_load_dwordx8 s[8:15], s[4:5], 0x38
	v_ashrrev_i32_e32 v7, 31, v6
	s_clause 0x1
	s_load_dwordx2 s[2:3], s[4:5], 0x10
	s_load_dwordx4 s[16:19], s[4:5], 0x58
	s_mov_b32 s22, 0
	s_mov_b32 s21, exec_lo
	v_lshlrev_b64 v[0:1], 3, v[6:7]
	s_waitcnt lgkmcnt(0)
	v_add_co_u32 v2, vcc_lo, s0, v0
	v_add_co_ci_u32_e64 v3, null, s1, v1, vcc_lo
	v_add_co_u32 v4, vcc_lo, s12, v0
	v_add_co_ci_u32_e64 v5, null, s13, v1, vcc_lo
	;; [unrolled: 2-line block ×3, first 2 shown]
	global_load_dwordx2 v[10:11], v[2:3], off
	global_load_dwordx2 v[2:3], v[4:5], off
	;; [unrolled: 1-line block ×3, first 2 shown]
	v_lshlrev_b64 v[7:8], 2, v[6:7]
	v_add_co_u32 v7, vcc_lo, s2, v7
	v_add_co_ci_u32_e64 v8, null, s3, v8, vcc_lo
	global_load_dword v8, v[7:8], off
	s_waitcnt vmcnt(2)
	v_mul_f64 v[2:3], v[10:11], v[2:3]
	s_waitcnt vmcnt(1)
	v_mul_f64 v[4:5], v[10:11], v[4:5]
	s_waitcnt vmcnt(0)
	v_cmpx_lt_i32_e32 0, v8
	s_cbranch_execz .LBB7_5
; %bb.2:
	s_clause 0x1
	s_load_dwordx2 s[6:7], s[4:5], 0x18
	s_load_dwordx4 s[0:3], s[4:5], 0x28
.LBB7_3:                                ; =>This Inner Loop Header: Depth=1
	v_ashrrev_i32_e32 v7, 31, v6
	v_add_nc_u32_e32 v8, -1, v8
	v_lshlrev_b64 v[9:10], 2, v[6:7]
	v_lshlrev_b64 v[11:12], 3, v[6:7]
	v_add_nc_u32_e32 v6, s20, v6
	s_waitcnt lgkmcnt(0)
	v_add_co_u32 v9, vcc_lo, s6, v9
	v_add_co_ci_u32_e64 v10, null, s7, v10, vcc_lo
	v_add_co_u32 v13, vcc_lo, s2, v11
	v_add_co_ci_u32_e64 v14, null, s3, v12, vcc_lo
	global_load_dword v9, v[9:10], off
	s_waitcnt vmcnt(0)
	v_ashrrev_i32_e32 v10, 31, v9
	v_lshlrev_b64 v[9:10], 3, v[9:10]
	v_add_co_u32 v15, vcc_lo, s14, v9
	v_add_co_ci_u32_e64 v16, null, s15, v10, vcc_lo
	v_add_co_u32 v11, vcc_lo, s0, v11
	v_add_co_ci_u32_e64 v12, null, s1, v12, vcc_lo
	global_load_dwordx2 v[13:14], v[13:14], off
	global_load_dwordx2 v[15:16], v[15:16], off
	;; [unrolled: 1-line block ×3, first 2 shown]
	v_add_co_u32 v9, vcc_lo, s12, v9
	v_add_co_ci_u32_e64 v10, null, s13, v10, vcc_lo
	v_cmp_eq_u32_e32 vcc_lo, 0, v8
	global_load_dwordx2 v[9:10], v[9:10], off
	s_or_b32 s22, vcc_lo, s22
	s_waitcnt vmcnt(2)
	v_mul_f64 v[17:18], v[13:14], v[15:16]
	s_waitcnt vmcnt(1)
	v_mul_f64 v[15:16], v[11:12], v[15:16]
	s_waitcnt vmcnt(0)
	v_fma_f64 v[11:12], v[11:12], v[9:10], -v[17:18]
	v_fma_f64 v[9:10], v[13:14], v[9:10], v[15:16]
	v_add_f64 v[2:3], v[2:3], v[11:12]
	v_add_f64 v[4:5], v[4:5], v[9:10]
	s_andn2_b32 exec_lo, exec_lo, s22
	s_cbranch_execnz .LBB7_3
; %bb.4:
	s_or_b32 exec_lo, exec_lo, s22
.LBB7_5:
	s_or_b32 exec_lo, exec_lo, s21
	v_add_co_u32 v6, vcc_lo, s8, v0
	v_add_co_ci_u32_e64 v7, null, s9, v1, vcc_lo
	v_add_co_u32 v8, vcc_lo, s10, v0
	v_add_co_ci_u32_e64 v9, null, s11, v1, vcc_lo
	global_load_dwordx2 v[6:7], v[6:7], off
	global_load_dwordx2 v[8:9], v[8:9], off
	s_load_dwordx2 s[2:3], s[4:5], 0x8
	s_waitcnt lgkmcnt(0)
	v_div_scale_f64 v[10:11], null, s[2:3], s[2:3], v[2:3]
	v_div_scale_f64 v[12:13], null, s[2:3], s[2:3], v[4:5]
	v_div_scale_f64 v[22:23], vcc_lo, v[2:3], s[2:3], v[2:3]
	v_rcp_f64_e32 v[14:15], v[10:11]
	v_rcp_f64_e32 v[16:17], v[12:13]
	v_fma_f64 v[18:19], -v[10:11], v[14:15], 1.0
	v_fma_f64 v[20:21], -v[12:13], v[16:17], 1.0
	v_fma_f64 v[14:15], v[14:15], v[18:19], v[14:15]
	v_fma_f64 v[16:17], v[16:17], v[20:21], v[16:17]
	v_fma_f64 v[18:19], -v[10:11], v[14:15], 1.0
	v_fma_f64 v[20:21], -v[12:13], v[16:17], 1.0
	v_fma_f64 v[14:15], v[14:15], v[18:19], v[14:15]
	v_div_scale_f64 v[18:19], s0, v[4:5], s[2:3], v[4:5]
	v_fma_f64 v[16:17], v[16:17], v[20:21], v[16:17]
	v_mul_f64 v[20:21], v[22:23], v[14:15]
	v_mul_f64 v[24:25], v[18:19], v[16:17]
	v_fma_f64 v[10:11], -v[10:11], v[20:21], v[22:23]
	v_fma_f64 v[12:13], -v[12:13], v[24:25], v[18:19]
	v_div_fmas_f64 v[10:11], v[10:11], v[14:15], v[20:21]
	s_mov_b32 vcc_lo, s0
	v_div_fmas_f64 v[12:13], v[12:13], v[16:17], v[24:25]
	v_div_fixup_f64 v[2:3], v[10:11], s[2:3], v[2:3]
	v_div_fixup_f64 v[4:5], v[12:13], s[2:3], v[4:5]
	s_waitcnt vmcnt(1)
	v_fma_f64 v[2:3], v[2:3], 2.0, -v[6:7]
	s_waitcnt vmcnt(0)
	v_fma_f64 v[4:5], v[4:5], 2.0, -v[8:9]
	v_add_co_u32 v6, vcc_lo, s16, v0
	v_add_co_ci_u32_e64 v7, null, s17, v1, vcc_lo
	v_add_co_u32 v0, vcc_lo, s18, v0
	v_add_co_ci_u32_e64 v1, null, s19, v1, vcc_lo
	global_store_dwordx2 v[6:7], v[2:3], off
	global_store_dwordx2 v[0:1], v[4:5], off
.LBB7_6:
	s_endpgm
	.section	.rodata,"a",@progbits
	.p2align	6, 0x0
	.amdhsa_kernel _Z21gpu_kernel_polynomialidPKiS0_PKdS2_S2_S2_S2_S2_S2_PdS3_
		.amdhsa_group_segment_fixed_size 0
		.amdhsa_private_segment_fixed_size 0
		.amdhsa_kernarg_size 360
		.amdhsa_user_sgpr_count 6
		.amdhsa_user_sgpr_private_segment_buffer 1
		.amdhsa_user_sgpr_dispatch_ptr 0
		.amdhsa_user_sgpr_queue_ptr 0
		.amdhsa_user_sgpr_kernarg_segment_ptr 1
		.amdhsa_user_sgpr_dispatch_id 0
		.amdhsa_user_sgpr_flat_scratch_init 0
		.amdhsa_user_sgpr_private_segment_size 0
		.amdhsa_wavefront_size32 1
		.amdhsa_uses_dynamic_stack 0
		.amdhsa_system_sgpr_private_segment_wavefront_offset 0
		.amdhsa_system_sgpr_workgroup_id_x 1
		.amdhsa_system_sgpr_workgroup_id_y 0
		.amdhsa_system_sgpr_workgroup_id_z 0
		.amdhsa_system_sgpr_workgroup_info 0
		.amdhsa_system_vgpr_workitem_id 0
		.amdhsa_next_free_vgpr 26
		.amdhsa_next_free_sgpr 23
		.amdhsa_reserve_vcc 1
		.amdhsa_reserve_flat_scratch 0
		.amdhsa_float_round_mode_32 0
		.amdhsa_float_round_mode_16_64 0
		.amdhsa_float_denorm_mode_32 3
		.amdhsa_float_denorm_mode_16_64 3
		.amdhsa_dx10_clamp 1
		.amdhsa_ieee_mode 1
		.amdhsa_fp16_overflow 0
		.amdhsa_workgroup_processor_mode 1
		.amdhsa_memory_ordered 1
		.amdhsa_forward_progress 1
		.amdhsa_shared_vgpr_count 0
		.amdhsa_exception_fp_ieee_invalid_op 0
		.amdhsa_exception_fp_denorm_src 0
		.amdhsa_exception_fp_ieee_div_zero 0
		.amdhsa_exception_fp_ieee_overflow 0
		.amdhsa_exception_fp_ieee_underflow 0
		.amdhsa_exception_fp_ieee_inexact 0
		.amdhsa_exception_int_div_zero 0
	.end_amdhsa_kernel
	.text
.Lfunc_end7:
	.size	_Z21gpu_kernel_polynomialidPKiS0_PKdS2_S2_S2_S2_S2_S2_PdS3_, .Lfunc_end7-_Z21gpu_kernel_polynomialidPKiS0_PKdS2_S2_S2_S2_S2_S2_PdS3_
                                        ; -- End function
	.set _Z21gpu_kernel_polynomialidPKiS0_PKdS2_S2_S2_S2_S2_S2_PdS3_.num_vgpr, 26
	.set _Z21gpu_kernel_polynomialidPKiS0_PKdS2_S2_S2_S2_S2_S2_PdS3_.num_agpr, 0
	.set _Z21gpu_kernel_polynomialidPKiS0_PKdS2_S2_S2_S2_S2_S2_PdS3_.numbered_sgpr, 23
	.set _Z21gpu_kernel_polynomialidPKiS0_PKdS2_S2_S2_S2_S2_S2_PdS3_.num_named_barrier, 0
	.set _Z21gpu_kernel_polynomialidPKiS0_PKdS2_S2_S2_S2_S2_S2_PdS3_.private_seg_size, 0
	.set _Z21gpu_kernel_polynomialidPKiS0_PKdS2_S2_S2_S2_S2_S2_PdS3_.uses_vcc, 1
	.set _Z21gpu_kernel_polynomialidPKiS0_PKdS2_S2_S2_S2_S2_S2_PdS3_.uses_flat_scratch, 0
	.set _Z21gpu_kernel_polynomialidPKiS0_PKdS2_S2_S2_S2_S2_S2_PdS3_.has_dyn_sized_stack, 0
	.set _Z21gpu_kernel_polynomialidPKiS0_PKdS2_S2_S2_S2_S2_S2_PdS3_.has_recursion, 0
	.set _Z21gpu_kernel_polynomialidPKiS0_PKdS2_S2_S2_S2_S2_S2_PdS3_.has_indirect_call, 0
	.section	.AMDGPU.csdata,"",@progbits
; Kernel info:
; codeLenInByte = 840
; TotalNumSgprs: 25
; NumVgprs: 26
; ScratchSize: 0
; MemoryBound: 0
; FloatMode: 240
; IeeeMode: 1
; LDSByteSize: 0 bytes/workgroup (compile time only)
; SGPRBlocks: 0
; VGPRBlocks: 3
; NumSGPRsForWavesPerEU: 25
; NumVGPRsForWavesPerEU: 26
; Occupancy: 16
; WaveLimiterHint : 1
; COMPUTE_PGM_RSRC2:SCRATCH_EN: 0
; COMPUTE_PGM_RSRC2:USER_SGPR: 6
; COMPUTE_PGM_RSRC2:TRAP_HANDLER: 0
; COMPUTE_PGM_RSRC2:TGID_X_EN: 1
; COMPUTE_PGM_RSRC2:TGID_Y_EN: 0
; COMPUTE_PGM_RSRC2:TGID_Z_EN: 0
; COMPUTE_PGM_RSRC2:TIDIG_COMP_CNT: 0
	.text
	.p2alignl 6, 3214868480
	.fill 48, 4, 3214868480
	.section	.AMDGPU.gpr_maximums,"",@progbits
	.set amdgpu.max_num_vgpr, 0
	.set amdgpu.max_num_agpr, 0
	.set amdgpu.max_num_sgpr, 0
	.text
	.type	__hip_cuid_4493932d9a5036c2,@object ; @__hip_cuid_4493932d9a5036c2
	.section	.bss,"aw",@nobits
	.globl	__hip_cuid_4493932d9a5036c2
__hip_cuid_4493932d9a5036c2:
	.byte	0                               ; 0x0
	.size	__hip_cuid_4493932d9a5036c2, 1

	.ident	"AMD clang version 22.0.0git (https://github.com/RadeonOpenCompute/llvm-project roc-7.2.4 26084 f58b06dce1f9c15707c5f808fd002e18c2accf7e)"
	.section	".note.GNU-stack","",@progbits
	.addrsig
	.addrsig_sym __hip_cuid_4493932d9a5036c2
	.amdgpu_metadata
---
amdhsa.kernels:
  - .args:
      - .offset:         0
        .size:           4
        .value_kind:     by_value
      - .offset:         8
        .size:           8
        .value_kind:     by_value
      - .actual_access:  read_only
        .address_space:  global
        .offset:         16
        .size:           8
        .value_kind:     global_buffer
      - .actual_access:  read_only
        .address_space:  global
        .offset:         24
        .size:           8
        .value_kind:     global_buffer
      - .actual_access:  read_only
        .address_space:  global
        .offset:         32
        .size:           8
        .value_kind:     global_buffer
      - .actual_access:  read_only
        .address_space:  global
        .offset:         40
        .size:           8
        .value_kind:     global_buffer
      - .actual_access:  read_only
        .address_space:  global
        .offset:         48
        .size:           8
        .value_kind:     global_buffer
      - .actual_access:  read_only
        .address_space:  global
        .offset:         56
        .size:           8
        .value_kind:     global_buffer
      - .actual_access:  read_only
        .address_space:  global
        .offset:         64
        .size:           8
        .value_kind:     global_buffer
      - .actual_access:  write_only
        .address_space:  global
        .offset:         72
        .size:           8
        .value_kind:     global_buffer
      - .actual_access:  write_only
        .address_space:  global
        .offset:         80
        .size:           8
        .value_kind:     global_buffer
      - .offset:         88
        .size:           4
        .value_kind:     hidden_block_count_x
      - .offset:         92
        .size:           4
        .value_kind:     hidden_block_count_y
      - .offset:         96
        .size:           4
        .value_kind:     hidden_block_count_z
      - .offset:         100
        .size:           2
        .value_kind:     hidden_group_size_x
      - .offset:         102
        .size:           2
        .value_kind:     hidden_group_size_y
      - .offset:         104
        .size:           2
        .value_kind:     hidden_group_size_z
      - .offset:         106
        .size:           2
        .value_kind:     hidden_remainder_x
      - .offset:         108
        .size:           2
        .value_kind:     hidden_remainder_y
      - .offset:         110
        .size:           2
        .value_kind:     hidden_remainder_z
      - .offset:         128
        .size:           8
        .value_kind:     hidden_global_offset_x
      - .offset:         136
        .size:           8
        .value_kind:     hidden_global_offset_y
      - .offset:         144
        .size:           8
        .value_kind:     hidden_global_offset_z
      - .offset:         152
        .size:           2
        .value_kind:     hidden_grid_dims
    .group_segment_fixed_size: 0
    .kernarg_segment_align: 8
    .kernarg_segment_size: 344
    .language:       OpenCL C
    .language_version:
      - 2
      - 0
    .max_flat_workgroup_size: 1024
    .name:           _Z21gpu_apply_hamiltonianidPKiS0_PKdS2_S2_S2_S2_PdS3_
    .private_segment_fixed_size: 0
    .sgpr_count:     21
    .sgpr_spill_count: 0
    .symbol:         _Z21gpu_apply_hamiltonianidPKiS0_PKdS2_S2_S2_S2_PdS3_.kd
    .uniform_work_group_size: 1
    .uses_dynamic_stack: false
    .vgpr_count:     22
    .vgpr_spill_count: 0
    .wavefront_size: 32
    .workgroup_processor_mode: 1
  - .args:
      - .offset:         0
        .size:           4
        .value_kind:     by_value
      - .offset:         8
        .size:           8
        .value_kind:     by_value
      - .address_space:  global
        .offset:         16
        .size:           8
        .value_kind:     global_buffer
      - .address_space:  global
        .offset:         24
        .size:           8
        .value_kind:     global_buffer
      - .address_space:  global
        .offset:         32
        .size:           8
        .value_kind:     global_buffer
      - .address_space:  global
        .offset:         40
        .size:           8
        .value_kind:     global_buffer
      - .address_space:  global
        .offset:         48
        .size:           8
        .value_kind:     global_buffer
      - .address_space:  global
        .offset:         56
        .size:           8
        .value_kind:     global_buffer
      - .address_space:  global
        .offset:         64
        .size:           8
        .value_kind:     global_buffer
      - .address_space:  global
        .offset:         72
        .size:           8
        .value_kind:     global_buffer
      - .address_space:  global
        .offset:         80
        .size:           8
        .value_kind:     global_buffer
      - .offset:         88
        .size:           4
        .value_kind:     hidden_block_count_x
      - .offset:         92
        .size:           4
        .value_kind:     hidden_block_count_y
      - .offset:         96
        .size:           4
        .value_kind:     hidden_block_count_z
      - .offset:         100
        .size:           2
        .value_kind:     hidden_group_size_x
      - .offset:         102
        .size:           2
        .value_kind:     hidden_group_size_y
      - .offset:         104
        .size:           2
        .value_kind:     hidden_group_size_z
      - .offset:         106
        .size:           2
        .value_kind:     hidden_remainder_x
      - .offset:         108
        .size:           2
        .value_kind:     hidden_remainder_y
      - .offset:         110
        .size:           2
        .value_kind:     hidden_remainder_z
      - .offset:         128
        .size:           8
        .value_kind:     hidden_global_offset_x
      - .offset:         136
        .size:           8
        .value_kind:     hidden_global_offset_y
      - .offset:         144
        .size:           8
        .value_kind:     hidden_global_offset_z
      - .offset:         152
        .size:           2
        .value_kind:     hidden_grid_dims
    .group_segment_fixed_size: 0
    .kernarg_segment_align: 8
    .kernarg_segment_size: 344
    .language:       OpenCL C
    .language_version:
      - 2
      - 0
    .max_flat_workgroup_size: 1024
    .name:           _Z20gpu_apply_commutatoridPiS_PdS0_S0_S0_S0_S0_S0_
    .private_segment_fixed_size: 0
    .sgpr_count:     26
    .sgpr_spill_count: 0
    .symbol:         _Z20gpu_apply_commutatoridPiS_PdS0_S0_S0_S0_S0_S0_.kd
    .uniform_work_group_size: 1
    .uses_dynamic_stack: false
    .vgpr_count:     22
    .vgpr_spill_count: 0
    .wavefront_size: 32
    .workgroup_processor_mode: 1
  - .args:
      - .offset:         0
        .size:           4
        .value_kind:     by_value
      - .actual_access:  read_only
        .address_space:  global
        .offset:         8
        .size:           8
        .value_kind:     global_buffer
      - .actual_access:  read_only
        .address_space:  global
        .offset:         16
        .size:           8
        .value_kind:     global_buffer
      - .actual_access:  read_only
        .address_space:  global
        .offset:         24
        .size:           8
        .value_kind:     global_buffer
      - .actual_access:  read_only
        .address_space:  global
        .offset:         32
        .size:           8
        .value_kind:     global_buffer
      - .actual_access:  read_only
        .address_space:  global
        .offset:         40
        .size:           8
        .value_kind:     global_buffer
      - .actual_access:  read_only
        .address_space:  global
        .offset:         48
        .size:           8
        .value_kind:     global_buffer
      - .actual_access:  read_only
        .address_space:  global
        .offset:         56
        .size:           8
        .value_kind:     global_buffer
      - .actual_access:  write_only
        .address_space:  global
        .offset:         64
        .size:           8
        .value_kind:     global_buffer
      - .actual_access:  write_only
        .address_space:  global
        .offset:         72
        .size:           8
        .value_kind:     global_buffer
      - .offset:         80
        .size:           4
        .value_kind:     hidden_block_count_x
      - .offset:         84
        .size:           4
        .value_kind:     hidden_block_count_y
      - .offset:         88
        .size:           4
        .value_kind:     hidden_block_count_z
      - .offset:         92
        .size:           2
        .value_kind:     hidden_group_size_x
      - .offset:         94
        .size:           2
        .value_kind:     hidden_group_size_y
      - .offset:         96
        .size:           2
        .value_kind:     hidden_group_size_z
      - .offset:         98
        .size:           2
        .value_kind:     hidden_remainder_x
      - .offset:         100
        .size:           2
        .value_kind:     hidden_remainder_y
      - .offset:         102
        .size:           2
        .value_kind:     hidden_remainder_z
      - .offset:         120
        .size:           8
        .value_kind:     hidden_global_offset_x
      - .offset:         128
        .size:           8
        .value_kind:     hidden_global_offset_y
      - .offset:         136
        .size:           8
        .value_kind:     hidden_global_offset_z
      - .offset:         144
        .size:           2
        .value_kind:     hidden_grid_dims
    .group_segment_fixed_size: 0
    .kernarg_segment_align: 8
    .kernarg_segment_size: 336
    .language:       OpenCL C
    .language_version:
      - 2
      - 0
    .max_flat_workgroup_size: 1024
    .name:           _Z17gpu_apply_currentiPKiS0_PKdS2_S2_S2_S2_PdS3_
    .private_segment_fixed_size: 0
    .sgpr_count:     21
    .sgpr_spill_count: 0
    .symbol:         _Z17gpu_apply_currentiPKiS0_PKdS2_S2_S2_S2_PdS3_.kd
    .uniform_work_group_size: 1
    .uses_dynamic_stack: false
    .vgpr_count:     21
    .vgpr_spill_count: 0
    .wavefront_size: 32
    .workgroup_processor_mode: 1
  - .args:
      - .offset:         0
        .size:           4
        .value_kind:     by_value
      - .actual_access:  read_only
        .address_space:  global
        .offset:         8
        .size:           8
        .value_kind:     global_buffer
      - .actual_access:  read_only
        .address_space:  global
        .offset:         16
        .size:           8
        .value_kind:     global_buffer
      - .actual_access:  read_only
        .address_space:  global
        .offset:         24
        .size:           8
        .value_kind:     global_buffer
      - .actual_access:  read_only
        .address_space:  global
        .offset:         32
        .size:           8
        .value_kind:     global_buffer
      - .actual_access:  write_only
        .address_space:  global
        .offset:         40
        .size:           8
        .value_kind:     global_buffer
      - .actual_access:  write_only
        .address_space:  global
        .offset:         48
        .size:           8
        .value_kind:     global_buffer
      - .offset:         56
        .size:           8
        .value_kind:     by_value
      - .offset:         64
        .size:           8
        .value_kind:     by_value
      - .offset:         72
        .size:           4
        .value_kind:     by_value
      - .offset:         80
        .size:           4
        .value_kind:     hidden_block_count_x
      - .offset:         84
        .size:           4
        .value_kind:     hidden_block_count_y
      - .offset:         88
        .size:           4
        .value_kind:     hidden_block_count_z
      - .offset:         92
        .size:           2
        .value_kind:     hidden_group_size_x
      - .offset:         94
        .size:           2
        .value_kind:     hidden_group_size_y
      - .offset:         96
        .size:           2
        .value_kind:     hidden_group_size_z
      - .offset:         98
        .size:           2
        .value_kind:     hidden_remainder_x
      - .offset:         100
        .size:           2
        .value_kind:     hidden_remainder_y
      - .offset:         102
        .size:           2
        .value_kind:     hidden_remainder_z
      - .offset:         120
        .size:           8
        .value_kind:     hidden_global_offset_x
      - .offset:         128
        .size:           8
        .value_kind:     hidden_global_offset_y
      - .offset:         136
        .size:           8
        .value_kind:     hidden_global_offset_z
      - .offset:         144
        .size:           2
        .value_kind:     hidden_grid_dims
    .group_segment_fixed_size: 0
    .kernarg_segment_align: 8
    .kernarg_segment_size: 336
    .language:       OpenCL C
    .language_version:
      - 2
      - 0
    .max_flat_workgroup_size: 1024
    .name:           _Z16gpu_chebyshev_01iPKdS0_S0_S0_PdS1_ddi
    .private_segment_fixed_size: 0
    .sgpr_count:     18
    .sgpr_spill_count: 0
    .symbol:         _Z16gpu_chebyshev_01iPKdS0_S0_S0_PdS1_ddi.kd
    .uniform_work_group_size: 1
    .uses_dynamic_stack: false
    .vgpr_count:     12
    .vgpr_spill_count: 0
    .wavefront_size: 32
    .workgroup_processor_mode: 1
  - .args:
      - .offset:         0
        .size:           4
        .value_kind:     by_value
      - .offset:         8
        .size:           8
        .value_kind:     by_value
      - .actual_access:  read_only
        .address_space:  global
        .offset:         16
        .size:           8
        .value_kind:     global_buffer
      - .actual_access:  read_only
        .address_space:  global
        .offset:         24
        .size:           8
        .value_kind:     global_buffer
      - .actual_access:  read_only
        .address_space:  global
        .offset:         32
        .size:           8
        .value_kind:     global_buffer
      - .actual_access:  read_only
        .address_space:  global
        .offset:         40
        .size:           8
        .value_kind:     global_buffer
      - .actual_access:  read_only
        .address_space:  global
        .offset:         48
        .size:           8
        .value_kind:     global_buffer
      - .actual_access:  read_only
        .address_space:  global
        .offset:         56
        .size:           8
        .value_kind:     global_buffer
      - .actual_access:  read_only
        .address_space:  global
        .offset:         64
        .size:           8
        .value_kind:     global_buffer
      - .actual_access:  read_only
        .address_space:  global
        .offset:         72
        .size:           8
        .value_kind:     global_buffer
      - .actual_access:  read_only
        .address_space:  global
        .offset:         80
        .size:           8
        .value_kind:     global_buffer
      - .actual_access:  write_only
        .address_space:  global
        .offset:         88
        .size:           8
        .value_kind:     global_buffer
      - .actual_access:  write_only
        .address_space:  global
        .offset:         96
        .size:           8
        .value_kind:     global_buffer
      - .address_space:  global
        .offset:         104
        .size:           8
        .value_kind:     global_buffer
      - .address_space:  global
        .offset:         112
        .size:           8
        .value_kind:     global_buffer
      - .offset:         120
        .size:           8
        .value_kind:     by_value
      - .offset:         128
        .size:           4
        .value_kind:     by_value
      - .offset:         136
        .size:           4
        .value_kind:     hidden_block_count_x
      - .offset:         140
        .size:           4
        .value_kind:     hidden_block_count_y
      - .offset:         144
        .size:           4
        .value_kind:     hidden_block_count_z
      - .offset:         148
        .size:           2
        .value_kind:     hidden_group_size_x
      - .offset:         150
        .size:           2
        .value_kind:     hidden_group_size_y
      - .offset:         152
        .size:           2
        .value_kind:     hidden_group_size_z
      - .offset:         154
        .size:           2
        .value_kind:     hidden_remainder_x
      - .offset:         156
        .size:           2
        .value_kind:     hidden_remainder_y
      - .offset:         158
        .size:           2
        .value_kind:     hidden_remainder_z
      - .offset:         176
        .size:           8
        .value_kind:     hidden_global_offset_x
      - .offset:         184
        .size:           8
        .value_kind:     hidden_global_offset_y
      - .offset:         192
        .size:           8
        .value_kind:     hidden_global_offset_z
      - .offset:         200
        .size:           2
        .value_kind:     hidden_grid_dims
    .group_segment_fixed_size: 0
    .kernarg_segment_align: 8
    .kernarg_segment_size: 392
    .language:       OpenCL C
    .language_version:
      - 2
      - 0
    .max_flat_workgroup_size: 1024
    .name:           _Z15gpu_chebyshev_2idPKiS0_PKdS2_S2_S2_S2_S2_S2_PdS3_S3_S3_di
    .private_segment_fixed_size: 0
    .sgpr_count:     29
    .sgpr_spill_count: 0
    .symbol:         _Z15gpu_chebyshev_2idPKiS0_PKdS2_S2_S2_S2_S2_S2_PdS3_S3_S3_di.kd
    .uniform_work_group_size: 1
    .uses_dynamic_stack: false
    .vgpr_count:     26
    .vgpr_spill_count: 0
    .wavefront_size: 32
    .workgroup_processor_mode: 1
  - .args:
      - .offset:         0
        .size:           4
        .value_kind:     by_value
      - .actual_access:  read_only
        .address_space:  global
        .offset:         8
        .size:           8
        .value_kind:     global_buffer
      - .actual_access:  read_only
        .address_space:  global
        .offset:         16
        .size:           8
        .value_kind:     global_buffer
      - .actual_access:  write_only
        .address_space:  global
        .offset:         24
        .size:           8
        .value_kind:     global_buffer
      - .actual_access:  write_only
        .address_space:  global
        .offset:         32
        .size:           8
        .value_kind:     global_buffer
      - .offset:         40
        .size:           8
        .value_kind:     by_value
      - .offset:         48
        .size:           4
        .value_kind:     hidden_block_count_x
      - .offset:         52
        .size:           4
        .value_kind:     hidden_block_count_y
      - .offset:         56
        .size:           4
        .value_kind:     hidden_block_count_z
      - .offset:         60
        .size:           2
        .value_kind:     hidden_group_size_x
      - .offset:         62
        .size:           2
        .value_kind:     hidden_group_size_y
      - .offset:         64
        .size:           2
        .value_kind:     hidden_group_size_z
      - .offset:         66
        .size:           2
        .value_kind:     hidden_remainder_x
      - .offset:         68
        .size:           2
        .value_kind:     hidden_remainder_y
      - .offset:         70
        .size:           2
        .value_kind:     hidden_remainder_z
      - .offset:         88
        .size:           8
        .value_kind:     hidden_global_offset_x
      - .offset:         96
        .size:           8
        .value_kind:     hidden_global_offset_y
      - .offset:         104
        .size:           8
        .value_kind:     hidden_global_offset_z
      - .offset:         112
        .size:           2
        .value_kind:     hidden_grid_dims
    .group_segment_fixed_size: 0
    .kernarg_segment_align: 8
    .kernarg_segment_size: 304
    .language:       OpenCL C
    .language_version:
      - 2
      - 0
    .max_flat_workgroup_size: 1024
    .name:           _Z16gpu_chebyshev_1xiPKdS0_PdS1_d
    .private_segment_fixed_size: 0
    .sgpr_count:     18
    .sgpr_spill_count: 0
    .symbol:         _Z16gpu_chebyshev_1xiPKdS0_PdS1_d.kd
    .uniform_work_group_size: 1
    .uses_dynamic_stack: false
    .vgpr_count:     8
    .vgpr_spill_count: 0
    .wavefront_size: 32
    .workgroup_processor_mode: 1
  - .args:
      - .offset:         0
        .size:           4
        .value_kind:     by_value
      - .offset:         8
        .size:           8
        .value_kind:     by_value
      - .actual_access:  read_only
        .address_space:  global
        .offset:         16
        .size:           8
        .value_kind:     global_buffer
      - .actual_access:  read_only
        .address_space:  global
        .offset:         24
        .size:           8
        .value_kind:     global_buffer
      - .actual_access:  read_only
        .address_space:  global
        .offset:         32
        .size:           8
        .value_kind:     global_buffer
      - .actual_access:  read_only
        .address_space:  global
        .offset:         40
        .size:           8
        .value_kind:     global_buffer
      - .actual_access:  read_only
        .address_space:  global
        .offset:         48
        .size:           8
        .value_kind:     global_buffer
      - .actual_access:  read_only
        .address_space:  global
        .offset:         56
        .size:           8
        .value_kind:     global_buffer
      - .actual_access:  read_only
        .address_space:  global
        .offset:         64
        .size:           8
        .value_kind:     global_buffer
      - .actual_access:  read_only
        .address_space:  global
        .offset:         72
        .size:           8
        .value_kind:     global_buffer
      - .actual_access:  read_only
        .address_space:  global
        .offset:         80
        .size:           8
        .value_kind:     global_buffer
      - .actual_access:  read_only
        .address_space:  global
        .offset:         88
        .size:           8
        .value_kind:     global_buffer
      - .actual_access:  read_only
        .address_space:  global
        .offset:         96
        .size:           8
        .value_kind:     global_buffer
      - .actual_access:  read_only
        .address_space:  global
        .offset:         104
        .size:           8
        .value_kind:     global_buffer
      - .actual_access:  read_only
        .address_space:  global
        .offset:         112
        .size:           8
        .value_kind:     global_buffer
      - .actual_access:  read_only
        .address_space:  global
        .offset:         120
        .size:           8
        .value_kind:     global_buffer
      - .actual_access:  write_only
        .address_space:  global
        .offset:         128
        .size:           8
        .value_kind:     global_buffer
      - .actual_access:  write_only
        .address_space:  global
        .offset:         136
        .size:           8
        .value_kind:     global_buffer
      - .actual_access:  write_only
        .address_space:  global
        .offset:         144
        .size:           8
        .value_kind:     global_buffer
      - .actual_access:  write_only
        .address_space:  global
        .offset:         152
        .size:           8
        .value_kind:     global_buffer
      - .address_space:  global
        .offset:         160
        .size:           8
        .value_kind:     global_buffer
      - .address_space:  global
        .offset:         168
        .size:           8
        .value_kind:     global_buffer
      - .offset:         176
        .size:           8
        .value_kind:     by_value
      - .offset:         184
        .size:           4
        .value_kind:     by_value
      - .offset:         192
        .size:           4
        .value_kind:     hidden_block_count_x
      - .offset:         196
        .size:           4
        .value_kind:     hidden_block_count_y
      - .offset:         200
        .size:           4
        .value_kind:     hidden_block_count_z
      - .offset:         204
        .size:           2
        .value_kind:     hidden_group_size_x
      - .offset:         206
        .size:           2
        .value_kind:     hidden_group_size_y
      - .offset:         208
        .size:           2
        .value_kind:     hidden_group_size_z
      - .offset:         210
        .size:           2
        .value_kind:     hidden_remainder_x
      - .offset:         212
        .size:           2
        .value_kind:     hidden_remainder_y
      - .offset:         214
        .size:           2
        .value_kind:     hidden_remainder_z
      - .offset:         232
        .size:           8
        .value_kind:     hidden_global_offset_x
      - .offset:         240
        .size:           8
        .value_kind:     hidden_global_offset_y
      - .offset:         248
        .size:           8
        .value_kind:     hidden_global_offset_z
      - .offset:         256
        .size:           2
        .value_kind:     hidden_grid_dims
    .group_segment_fixed_size: 0
    .kernarg_segment_align: 8
    .kernarg_segment_size: 448
    .language:       OpenCL C
    .language_version:
      - 2
      - 0
    .max_flat_workgroup_size: 1024
    .name:           _Z16gpu_chebyshev_2xidPKiS0_PKdS2_S2_S2_S2_S2_S2_S2_S2_S2_S2_S2_PdS3_S3_S3_S3_S3_di
    .private_segment_fixed_size: 0
    .sgpr_count:     44
    .sgpr_spill_count: 0
    .symbol:         _Z16gpu_chebyshev_2xidPKiS0_PKdS2_S2_S2_S2_S2_S2_S2_S2_S2_S2_S2_PdS3_S3_S3_S3_S3_di.kd
    .uniform_work_group_size: 1
    .uses_dynamic_stack: false
    .vgpr_count:     50
    .vgpr_spill_count: 0
    .wavefront_size: 32
    .workgroup_processor_mode: 1
  - .args:
      - .offset:         0
        .size:           4
        .value_kind:     by_value
      - .offset:         8
        .size:           8
        .value_kind:     by_value
      - .actual_access:  read_only
        .address_space:  global
        .offset:         16
        .size:           8
        .value_kind:     global_buffer
      - .actual_access:  read_only
        .address_space:  global
        .offset:         24
        .size:           8
        .value_kind:     global_buffer
      - .actual_access:  read_only
        .address_space:  global
        .offset:         32
        .size:           8
        .value_kind:     global_buffer
      - .actual_access:  read_only
        .address_space:  global
        .offset:         40
        .size:           8
        .value_kind:     global_buffer
      - .actual_access:  read_only
        .address_space:  global
        .offset:         48
        .size:           8
        .value_kind:     global_buffer
      - .actual_access:  read_only
        .address_space:  global
        .offset:         56
        .size:           8
        .value_kind:     global_buffer
      - .actual_access:  read_only
        .address_space:  global
        .offset:         64
        .size:           8
        .value_kind:     global_buffer
      - .actual_access:  read_only
        .address_space:  global
        .offset:         72
        .size:           8
        .value_kind:     global_buffer
      - .actual_access:  read_only
        .address_space:  global
        .offset:         80
        .size:           8
        .value_kind:     global_buffer
      - .actual_access:  write_only
        .address_space:  global
        .offset:         88
        .size:           8
        .value_kind:     global_buffer
      - .actual_access:  write_only
        .address_space:  global
        .offset:         96
        .size:           8
        .value_kind:     global_buffer
      - .offset:         104
        .size:           4
        .value_kind:     hidden_block_count_x
      - .offset:         108
        .size:           4
        .value_kind:     hidden_block_count_y
      - .offset:         112
        .size:           4
        .value_kind:     hidden_block_count_z
      - .offset:         116
        .size:           2
        .value_kind:     hidden_group_size_x
      - .offset:         118
        .size:           2
        .value_kind:     hidden_group_size_y
      - .offset:         120
        .size:           2
        .value_kind:     hidden_group_size_z
      - .offset:         122
        .size:           2
        .value_kind:     hidden_remainder_x
      - .offset:         124
        .size:           2
        .value_kind:     hidden_remainder_y
      - .offset:         126
        .size:           2
        .value_kind:     hidden_remainder_z
      - .offset:         144
        .size:           8
        .value_kind:     hidden_global_offset_x
      - .offset:         152
        .size:           8
        .value_kind:     hidden_global_offset_y
      - .offset:         160
        .size:           8
        .value_kind:     hidden_global_offset_z
      - .offset:         168
        .size:           2
        .value_kind:     hidden_grid_dims
    .group_segment_fixed_size: 0
    .kernarg_segment_align: 8
    .kernarg_segment_size: 360
    .language:       OpenCL C
    .language_version:
      - 2
      - 0
    .max_flat_workgroup_size: 1024
    .name:           _Z21gpu_kernel_polynomialidPKiS0_PKdS2_S2_S2_S2_S2_S2_PdS3_
    .private_segment_fixed_size: 0
    .sgpr_count:     25
    .sgpr_spill_count: 0
    .symbol:         _Z21gpu_kernel_polynomialidPKiS0_PKdS2_S2_S2_S2_S2_S2_PdS3_.kd
    .uniform_work_group_size: 1
    .uses_dynamic_stack: false
    .vgpr_count:     26
    .vgpr_spill_count: 0
    .wavefront_size: 32
    .workgroup_processor_mode: 1
amdhsa.target:   amdgcn-amd-amdhsa--gfx1030
amdhsa.version:
  - 1
  - 2
...

	.end_amdgpu_metadata
